;; amdgpu-corpus repo=ROCm/rocFFT kind=compiled arch=gfx906 opt=O3
	.text
	.amdgcn_target "amdgcn-amd-amdhsa--gfx906"
	.amdhsa_code_object_version 6
	.protected	bluestein_single_fwd_len459_dim1_sp_op_CI_CI ; -- Begin function bluestein_single_fwd_len459_dim1_sp_op_CI_CI
	.globl	bluestein_single_fwd_len459_dim1_sp_op_CI_CI
	.p2align	8
	.type	bluestein_single_fwd_len459_dim1_sp_op_CI_CI,@function
bluestein_single_fwd_len459_dim1_sp_op_CI_CI: ; @bluestein_single_fwd_len459_dim1_sp_op_CI_CI
; %bb.0:
	s_mov_b64 s[22:23], s[2:3]
	v_mul_u32_u24_e32 v1, 0x506, v0
	s_mov_b64 s[20:21], s[0:1]
	s_load_dwordx4 s[0:3], s[4:5], 0x28
	v_lshrrev_b32_e32 v1, 16, v1
	s_add_u32 s20, s20, s7
	v_mad_u64_u32 v[48:49], s[6:7], s6, 5, v[1:2]
	v_mov_b32_e32 v49, 0
	s_addc_u32 s21, s21, 0
	s_waitcnt lgkmcnt(0)
	v_cmp_gt_u64_e32 vcc, s[0:1], v[48:49]
	s_and_saveexec_b64 s[0:1], vcc
	s_cbranch_execz .LBB0_15
; %bb.1:
	s_mov_b32 s0, 0xcccccccd
	v_mul_hi_u32 v2, v48, s0
	v_mul_lo_u16_e32 v1, 51, v1
	s_load_dwordx2 s[6:7], s[4:5], 0x0
	s_load_dwordx2 s[8:9], s[4:5], 0x38
	v_sub_u16_e32 v76, v0, v1
	v_lshrrev_b32_e32 v0, 2, v2
	v_lshl_add_u32 v0, v0, 2, v0
	v_sub_u32_e32 v0, v48, v0
	v_mul_u32_u24_e32 v38, 0x1cb, v0
	v_cmp_gt_u16_e32 vcc, 27, v76
	v_lshlrev_b32_e32 v75, 3, v76
	v_lshlrev_b32_e32 v77, 3, v38
	s_and_saveexec_b64 s[10:11], vcc
	s_cbranch_execz .LBB0_3
; %bb.2:
	s_load_dwordx2 s[0:1], s[4:5], 0x18
	s_waitcnt lgkmcnt(0)
	s_load_dwordx4 s[12:15], s[0:1], 0x0
	s_waitcnt lgkmcnt(0)
	v_mad_u64_u32 v[0:1], s[0:1], s14, v48, 0
	v_mad_u64_u32 v[2:3], s[0:1], s12, v76, 0
	;; [unrolled: 1-line block ×4, first 2 shown]
	v_mov_b32_e32 v1, v4
	v_lshlrev_b64 v[0:1], 3, v[0:1]
	v_mov_b32_e32 v3, v5
	v_mov_b32_e32 v6, s3
	v_lshlrev_b64 v[2:3], 3, v[2:3]
	v_add_co_u32_e64 v0, s[0:1], s2, v0
	v_addc_co_u32_e64 v1, s[0:1], v6, v1, s[0:1]
	v_add_co_u32_e64 v0, s[0:1], v0, v2
	v_addc_co_u32_e64 v1, s[0:1], v1, v3, s[0:1]
	s_mul_i32 s0, s13, 0xd8
	s_mul_hi_u32 s2, s12, 0xd8
	s_add_i32 s2, s2, s0
	s_mul_i32 s3, s12, 0xd8
	v_mov_b32_e32 v3, s2
	v_add_co_u32_e64 v2, s[0:1], s3, v0
	v_addc_co_u32_e64 v3, s[0:1], v1, v3, s[0:1]
	v_mov_b32_e32 v5, s2
	v_add_co_u32_e64 v4, s[0:1], s3, v2
	v_addc_co_u32_e64 v5, s[0:1], v3, v5, s[0:1]
	;; [unrolled: 3-line block ×3, first 2 shown]
	global_load_dwordx2 v[8:9], v[0:1], off
	global_load_dwordx2 v[10:11], v[2:3], off
	global_load_dwordx2 v[12:13], v[4:5], off
	global_load_dwordx2 v[14:15], v[6:7], off
	global_load_dwordx2 v[16:17], v75, s[6:7]
	global_load_dwordx2 v[18:19], v75, s[6:7] offset:216
	global_load_dwordx2 v[20:21], v75, s[6:7] offset:432
	;; [unrolled: 1-line block ×3, first 2 shown]
	v_mov_b32_e32 v1, s2
	v_add_co_u32_e64 v0, s[0:1], s3, v6
	v_addc_co_u32_e64 v1, s[0:1], v7, v1, s[0:1]
	global_load_dwordx2 v[2:3], v[0:1], off
	v_mov_b32_e32 v4, s2
	v_add_co_u32_e64 v0, s[0:1], s3, v0
	v_addc_co_u32_e64 v1, s[0:1], v1, v4, s[0:1]
	global_load_dwordx2 v[4:5], v[0:1], off
	;; [unrolled: 4-line block ×4, first 2 shown]
	global_load_dwordx2 v[26:27], v75, s[6:7] offset:864
	global_load_dwordx2 v[28:29], v75, s[6:7] offset:1080
	;; [unrolled: 1-line block ×4, first 2 shown]
	v_mov_b32_e32 v34, s2
	v_add_co_u32_e64 v0, s[0:1], s3, v0
	v_addc_co_u32_e64 v1, s[0:1], v1, v34, s[0:1]
	global_load_dwordx2 v[34:35], v[0:1], off
	v_mov_b32_e32 v36, s2
	v_add_co_u32_e64 v0, s[0:1], s3, v0
	v_addc_co_u32_e64 v1, s[0:1], v1, v36, s[0:1]
	global_load_dwordx2 v[36:37], v[0:1], off
	;; [unrolled: 4-line block ×4, first 2 shown]
	global_load_dwordx2 v[43:44], v75, s[6:7] offset:1728
	global_load_dwordx2 v[45:46], v75, s[6:7] offset:1944
	;; [unrolled: 1-line block ×4, first 2 shown]
	v_mov_b32_e32 v47, s2
	v_add_co_u32_e64 v0, s[0:1], s3, v0
	v_addc_co_u32_e64 v1, s[0:1], v1, v47, s[0:1]
	global_load_dwordx2 v[53:54], v[0:1], off
	v_add_co_u32_e64 v0, s[0:1], s3, v0
	v_addc_co_u32_e64 v1, s[0:1], v1, v47, s[0:1]
	global_load_dwordx2 v[55:56], v[0:1], off
	global_load_dwordx2 v[57:58], v75, s[6:7] offset:2592
	global_load_dwordx2 v[59:60], v75, s[6:7] offset:2808
	v_add_co_u32_e64 v0, s[0:1], s3, v0
	v_addc_co_u32_e64 v1, s[0:1], v1, v47, s[0:1]
	global_load_dwordx2 v[61:62], v[0:1], off
	v_add_co_u32_e64 v0, s[0:1], s3, v0
	v_addc_co_u32_e64 v1, s[0:1], v1, v47, s[0:1]
	global_load_dwordx2 v[63:64], v75, s[6:7] offset:3024
	global_load_dwordx2 v[65:66], v[0:1], off
	global_load_dwordx2 v[67:68], v75, s[6:7] offset:3240
	v_add_co_u32_e64 v0, s[0:1], s3, v0
	v_addc_co_u32_e64 v1, s[0:1], v1, v47, s[0:1]
	global_load_dwordx2 v[69:70], v[0:1], off
	global_load_dwordx2 v[71:72], v75, s[6:7] offset:3456
	v_lshl_add_u32 v47, v76, 3, v77
	s_waitcnt vmcnt(29)
	v_mul_f32_e32 v0, v9, v17
	v_mul_f32_e32 v1, v8, v17
	v_fmac_f32_e32 v0, v8, v16
	v_fma_f32 v1, v9, v16, -v1
	ds_write_b64 v47, v[0:1]
	s_waitcnt vmcnt(28)
	v_mul_f32_e32 v0, v11, v19
	v_mul_f32_e32 v1, v10, v19
	s_waitcnt vmcnt(27)
	v_mul_f32_e32 v8, v13, v21
	v_mul_f32_e32 v9, v12, v21
	v_fmac_f32_e32 v0, v10, v18
	v_add_u32_e32 v16, v77, v75
	v_fma_f32 v1, v11, v18, -v1
	v_fmac_f32_e32 v8, v12, v20
	v_fma_f32 v9, v13, v20, -v9
	ds_write2_b64 v16, v[0:1], v[8:9] offset0:27 offset1:54
	s_waitcnt vmcnt(26)
	v_mul_f32_e32 v0, v15, v23
	v_mul_f32_e32 v1, v14, v23
	v_fmac_f32_e32 v0, v14, v22
	v_fma_f32 v1, v15, v22, -v1
	s_waitcnt vmcnt(21)
	v_mul_f32_e32 v8, v3, v27
	v_fmac_f32_e32 v8, v2, v26
	v_mul_f32_e32 v2, v2, v27
	v_fma_f32 v9, v3, v26, -v2
	ds_write2_b64 v16, v[0:1], v[8:9] offset0:81 offset1:108
	s_waitcnt vmcnt(20)
	v_mul_f32_e32 v0, v5, v29
	v_mul_f32_e32 v1, v4, v29
	s_waitcnt vmcnt(19)
	v_mul_f32_e32 v2, v7, v31
	v_mul_f32_e32 v3, v6, v31
	v_fmac_f32_e32 v0, v4, v28
	v_fma_f32 v1, v5, v28, -v1
	v_fmac_f32_e32 v2, v6, v30
	v_fma_f32 v3, v7, v30, -v3
	ds_write2_b64 v16, v[0:1], v[2:3] offset0:135 offset1:162
	s_waitcnt vmcnt(18)
	v_mul_f32_e32 v0, v25, v33
	v_mul_f32_e32 v1, v24, v33
	v_fmac_f32_e32 v0, v24, v32
	v_fma_f32 v1, v25, v32, -v1
	v_add_u32_e32 v4, 0x400, v16
	s_waitcnt vmcnt(13)
	v_mul_f32_e32 v2, v35, v44
	v_mul_f32_e32 v3, v34, v44
	v_fmac_f32_e32 v2, v34, v43
	v_fma_f32 v3, v35, v43, -v3
	ds_write2_b64 v16, v[0:1], v[2:3] offset0:189 offset1:216
	s_waitcnt vmcnt(12)
	v_mul_f32_e32 v0, v37, v46
	v_mul_f32_e32 v1, v36, v46
	s_waitcnt vmcnt(11)
	v_mul_f32_e32 v2, v40, v50
	v_mul_f32_e32 v3, v39, v50
	v_fmac_f32_e32 v0, v36, v45
	v_fma_f32 v1, v37, v45, -v1
	v_fmac_f32_e32 v2, v39, v49
	v_fma_f32 v3, v40, v49, -v3
	ds_write2_b64 v4, v[0:1], v[2:3] offset0:115 offset1:142
	s_waitcnt vmcnt(10)
	v_mul_f32_e32 v0, v42, v52
	v_mul_f32_e32 v1, v41, v52
	s_waitcnt vmcnt(7)
	v_mul_f32_e32 v2, v54, v58
	v_mul_f32_e32 v3, v53, v58
	v_fmac_f32_e32 v0, v41, v51
	v_fma_f32 v1, v42, v51, -v1
	v_fmac_f32_e32 v2, v53, v57
	v_fma_f32 v3, v54, v57, -v3
	v_add_u32_e32 v4, 0x800, v16
	ds_write2_b64 v4, v[0:1], v[2:3] offset0:41 offset1:68
	s_waitcnt vmcnt(6)
	v_mul_f32_e32 v0, v56, v60
	v_mul_f32_e32 v1, v55, v60
	s_waitcnt vmcnt(4)
	v_mul_f32_e32 v2, v62, v64
	v_mul_f32_e32 v3, v61, v64
	v_fmac_f32_e32 v0, v55, v59
	v_fma_f32 v1, v56, v59, -v1
	v_fmac_f32_e32 v2, v61, v63
	v_fma_f32 v3, v62, v63, -v3
	ds_write2_b64 v4, v[0:1], v[2:3] offset0:95 offset1:122
	s_waitcnt vmcnt(2)
	v_mul_f32_e32 v0, v66, v68
	v_mul_f32_e32 v1, v65, v68
	s_waitcnt vmcnt(0)
	v_mul_f32_e32 v2, v70, v72
	v_mul_f32_e32 v3, v69, v72
	v_fmac_f32_e32 v0, v65, v67
	v_fma_f32 v1, v66, v67, -v1
	v_fmac_f32_e32 v2, v69, v71
	v_fma_f32 v3, v70, v71, -v3
	ds_write2_b64 v4, v[0:1], v[2:3] offset0:149 offset1:176
.LBB0_3:
	s_or_b64 exec, exec, s[10:11]
	s_load_dwordx2 s[0:1], s[4:5], 0x20
	s_load_dwordx2 s[10:11], s[4:5], 0x8
	v_mov_b32_e32 v4, 0
	v_mov_b32_e32 v5, 0
	s_waitcnt lgkmcnt(0)
	s_barrier
	s_waitcnt lgkmcnt(0)
                                        ; implicit-def: $vgpr10
                                        ; implicit-def: $vgpr12
                                        ; implicit-def: $vgpr28
                                        ; implicit-def: $vgpr32
                                        ; implicit-def: $vgpr36
                                        ; implicit-def: $vgpr26
                                        ; implicit-def: $vgpr22
                                        ; implicit-def: $vgpr18
	s_and_saveexec_b64 s[2:3], vcc
	s_cbranch_execz .LBB0_5
; %bb.4:
	v_lshl_add_u32 v0, v38, 3, v75
	ds_read2_b64 v[4:7], v0 offset1:27
	ds_read2_b64 v[16:19], v0 offset0:54 offset1:81
	ds_read2_b64 v[20:23], v0 offset0:108 offset1:135
	;; [unrolled: 1-line block ×4, first 2 shown]
	v_add_u32_e32 v1, 0x800, v0
	ds_read2_b64 v[12:15], v1 offset0:14 offset1:41
	ds_read2_b64 v[28:31], v1 offset0:68 offset1:95
	;; [unrolled: 1-line block ×3, first 2 shown]
	ds_read_b64 v[36:37], v0 offset:3456
.LBB0_5:
	s_or_b64 exec, exec, s[2:3]
	s_waitcnt lgkmcnt(0)
	v_sub_f32_e32 v60, v7, v37
	v_mul_f32_e32 v39, 0xbeb8f4ab, v60
	v_sub_f32_e32 v105, v17, v35
	v_add_f32_e32 v67, v36, v6
	v_sub_f32_e32 v59, v6, v36
	v_mov_b32_e32 v0, v39
	v_mul_f32_e32 v41, 0xbf2c7751, v105
	v_add_f32_e32 v68, v37, v7
	s_mov_b32 s12, 0x3f6eb680
	v_mul_f32_e32 v40, 0xbeb8f4ab, v59
	v_fmac_f32_e32 v0, 0x3f6eb680, v67
	v_add_f32_e32 v72, v34, v16
	v_sub_f32_e32 v78, v16, v34
	v_mov_b32_e32 v2, v41
	v_add_f32_e32 v0, v0, v4
	v_fma_f32 v1, v68, s12, -v40
	s_mov_b32 s4, 0x3f3d2fb0
	v_add_f32_e32 v73, v35, v17
	v_mul_f32_e32 v42, 0xbf2c7751, v78
	v_fmac_f32_e32 v2, 0x3f3d2fb0, v72
	v_sub_f32_e32 v122, v19, v33
	v_add_f32_e32 v1, v1, v5
	v_add_f32_e32 v0, v2, v0
	v_fma_f32 v2, v73, s4, -v42
	v_mul_f32_e32 v43, 0xbf65296c, v122
	v_add_f32_e32 v1, v2, v1
	v_add_f32_e32 v94, v32, v18
	v_sub_f32_e32 v121, v18, v32
	v_mov_b32_e32 v2, v43
	s_mov_b32 s3, 0x3ee437d1
	v_add_f32_e32 v95, v33, v19
	v_mul_f32_e32 v44, 0xbf65296c, v121
	v_fmac_f32_e32 v2, 0x3ee437d1, v94
	v_sub_f32_e32 v132, v21, v31
	v_add_f32_e32 v0, v2, v0
	v_fma_f32 v2, v95, s3, -v44
	v_mul_f32_e32 v214, 0xbf7ee86f, v132
	v_add_f32_e32 v1, v2, v1
	v_add_f32_e32 v81, v30, v20
	v_sub_f32_e32 v128, v20, v30
	v_mov_b32_e32 v2, v214
	s_mov_b32 s2, 0x3dbcf732
	v_add_f32_e32 v82, v31, v21
	v_mul_f32_e32 v46, 0xbf7ee86f, v128
	v_fmac_f32_e32 v2, 0x3dbcf732, v81
	v_sub_f32_e32 v142, v23, v29
	;; [unrolled: 12-line block ×5, first 2 shown]
	v_add_f32_e32 v0, v2, v0
	v_fma_f32 v2, v103, s14, -v65
	v_mul_f32_e32 v66, 0xbe3c28d5, v201
	v_add_f32_e32 v1, v2, v1
	v_add_f32_e32 v116, v10, v8
	v_mov_b32_e32 v2, v66
	v_sub_f32_e32 v202, v8, v10
	s_mov_b32 s15, 0xbf7ba420
	v_fmac_f32_e32 v2, 0xbf7ba420, v116
	v_add_f32_e32 v119, v11, v9
	v_mul_f32_e32 v69, 0xbe3c28d5, v202
	v_mul_f32_e32 v70, 0xbf2c7751, v60
	v_fma_f32 v3, v119, s15, -v69
	v_add_f32_e32 v2, v2, v0
	v_mov_b32_e32 v0, v70
	v_mul_f32_e32 v71, 0xbf7ee86f, v105
	v_add_f32_e32 v3, v3, v1
	v_fmac_f32_e32 v0, 0x3f3d2fb0, v67
	v_mov_b32_e32 v1, v71
	v_add_f32_e32 v0, v0, v4
	v_fmac_f32_e32 v1, 0x3dbcf732, v72
	v_mul_f32_e32 v83, 0xbf2c7751, v59
	v_add_f32_e32 v0, v1, v0
	v_fma_f32 v1, v68, s4, -v83
	v_mul_f32_e32 v84, 0xbf7ee86f, v78
	v_add_f32_e32 v1, v1, v5
	v_fma_f32 v49, v73, s2, -v84
	v_mul_f32_e32 v74, 0xbf4c4adb, v122
	v_add_f32_e32 v1, v49, v1
	v_mov_b32_e32 v49, v74
	v_fmac_f32_e32 v49, 0xbf1a4643, v94
	v_mul_f32_e32 v86, 0xbf4c4adb, v121
	v_add_f32_e32 v0, v49, v0
	v_fma_f32 v49, v95, s13, -v86
	v_mul_f32_e32 v79, 0xbe3c28d5, v132
	v_add_f32_e32 v1, v49, v1
	v_mov_b32_e32 v49, v79
	v_fmac_f32_e32 v49, 0xbf7ba420, v81
	v_mul_f32_e32 v88, 0xbe3c28d5, v128
	v_add_f32_e32 v0, v49, v0
	v_fma_f32 v49, v82, s15, -v88
	v_mul_f32_e32 v80, 0x3f06c442, v142
	v_add_f32_e32 v1, v49, v1
	v_mov_b32_e32 v49, v80
	v_fmac_f32_e32 v49, 0xbf59a7d5, v91
	v_mul_f32_e32 v90, 0x3f06c442, v141
	v_add_f32_e32 v0, v49, v0
	v_fma_f32 v49, v92, s14, -v90
	v_mul_f32_e32 v85, 0x3f763a35, v198
	v_add_f32_e32 v1, v49, v1
	v_mov_b32_e32 v49, v85
	v_fmac_f32_e32 v49, 0xbe8c1d8e, v98
	v_mul_f32_e32 v93, 0x3f763a35, v155
	v_add_f32_e32 v0, v49, v0
	v_fma_f32 v49, v99, s5, -v93
	v_mul_f32_e32 v87, 0x3f65296c, v200
	v_add_f32_e32 v1, v49, v1
	v_mov_b32_e32 v49, v87
	v_fmac_f32_e32 v49, 0x3ee437d1, v102
	v_mul_f32_e32 v96, 0x3f65296c, v199
	v_add_f32_e32 v0, v49, v0
	v_fma_f32 v49, v103, s3, -v96
	v_mul_f32_e32 v89, 0x3eb8f4ab, v201
	v_add_f32_e32 v1, v49, v1
	v_mov_b32_e32 v49, v89
	v_fmac_f32_e32 v49, 0x3f6eb680, v116
	v_mul_f32_e32 v97, 0x3eb8f4ab, v202
	v_add_f32_e32 v0, v49, v0
	v_fma_f32 v49, v119, s12, -v97
	v_mul_f32_e32 v100, 0xbf65296c, v60
	v_add_f32_e32 v1, v49, v1
	v_mov_b32_e32 v49, v100
	v_mul_f32_e32 v101, 0xbf4c4adb, v105
	v_fmac_f32_e32 v49, 0x3ee437d1, v67
	v_mov_b32_e32 v50, v101
	v_add_f32_e32 v49, v49, v4
	v_fmac_f32_e32 v50, 0xbf1a4643, v72
	v_mul_f32_e32 v108, 0xbf65296c, v59
	v_add_f32_e32 v49, v50, v49
	v_fma_f32 v50, v68, s3, -v108
	v_mul_f32_e32 v109, 0xbf4c4adb, v78
	v_add_f32_e32 v50, v50, v5
	v_fma_f32 v51, v73, s13, -v109
	v_mul_f32_e32 v104, 0x3e3c28d5, v122
	v_add_f32_e32 v50, v51, v50
	v_mov_b32_e32 v51, v104
	v_fmac_f32_e32 v51, 0xbf7ba420, v94
	v_mul_f32_e32 v111, 0x3e3c28d5, v121
	v_add_f32_e32 v49, v51, v49
	v_fma_f32 v51, v95, s15, -v111
	v_mul_f32_e32 v106, 0x3f763a35, v132
	v_add_f32_e32 v50, v51, v50
	v_mov_b32_e32 v51, v106
	v_fmac_f32_e32 v51, 0xbe8c1d8e, v81
	v_mul_f32_e32 v113, 0x3f763a35, v128
	v_add_f32_e32 v49, v51, v49
	v_fma_f32 v51, v82, s5, -v113
	v_mul_f32_e32 v107, 0x3f2c7751, v142
	v_add_f32_e32 v50, v51, v50
	v_mov_b32_e32 v51, v107
	v_fmac_f32_e32 v51, 0x3f3d2fb0, v91
	v_mul_f32_e32 v115, 0x3f2c7751, v141
	v_add_f32_e32 v49, v51, v49
	v_fma_f32 v51, v92, s4, -v115
	v_mul_f32_e32 v110, 0xbeb8f4ab, v198
	v_add_f32_e32 v50, v51, v50
	v_mov_b32_e32 v51, v110
	v_fmac_f32_e32 v51, 0x3f6eb680, v98
	v_mul_f32_e32 v117, 0xbeb8f4ab, v155
	v_add_f32_e32 v49, v51, v49
	v_fma_f32 v51, v99, s12, -v117
	v_mul_f32_e32 v112, 0xbf7ee86f, v200
	v_add_f32_e32 v50, v51, v50
	v_mov_b32_e32 v51, v112
	v_fmac_f32_e32 v51, 0x3dbcf732, v102
	v_mul_f32_e32 v118, 0xbf7ee86f, v199
	v_add_f32_e32 v49, v51, v49
	v_fma_f32 v51, v103, s2, -v118
	v_mul_f32_e32 v114, 0xbf06c442, v201
	v_add_f32_e32 v50, v51, v50
	v_mov_b32_e32 v51, v114
	v_fmac_f32_e32 v51, 0xbf59a7d5, v116
	v_mul_f32_e32 v120, 0xbf06c442, v202
	v_add_f32_e32 v49, v51, v49
	v_fma_f32 v51, v119, s14, -v120
	v_mul_f32_e32 v123, 0xbf7ee86f, v60
	v_add_f32_e32 v50, v51, v50
	v_mov_b32_e32 v51, v123
	v_mul_f32_e32 v124, 0xbe3c28d5, v105
	;; [unrolled: 56-line block ×5, first 2 shown]
	v_fmac_f32_e32 v57, 0xbf59a7d5, v67
	v_mov_b32_e32 v58, v177
	v_add_f32_e32 v57, v57, v4
	v_fmac_f32_e32 v58, 0x3ee437d1, v72
	v_mul_f32_e32 v184, 0xbf06c442, v59
	v_add_f32_e32 v57, v58, v57
	v_fma_f32 v58, v68, s14, -v184
	v_mul_f32_e32 v185, 0x3f65296c, v78
	v_add_f32_e32 v58, v58, v5
	v_fma_f32 v178, v73, s3, -v185
	v_add_f32_e32 v58, v178, v58
	v_mul_f32_e32 v178, 0xbf7ee86f, v122
	v_mov_b32_e32 v179, v178
	v_fmac_f32_e32 v179, 0x3dbcf732, v94
	v_mul_f32_e32 v186, 0xbf7ee86f, v121
	v_add_f32_e32 v57, v179, v57
	v_fma_f32 v179, v95, s2, -v186
	v_add_f32_e32 v58, v179, v58
	v_mul_f32_e32 v179, 0x3f4c4adb, v132
	v_mov_b32_e32 v180, v179
	v_fmac_f32_e32 v180, 0xbf1a4643, v81
	;; [unrolled: 7-line block ×6, first 2 shown]
	v_add_f32_e32 v57, v191, v57
	v_mul_f32_e32 v191, 0xbf763a35, v202
	v_fma_f32 v192, v119, s5, -v191
	v_add_f32_e32 v58, v192, v58
	v_mul_f32_e32 v192, 0xbe3c28d5, v60
	v_mov_b32_e32 v60, v192
	v_mul_f32_e32 v105, 0x3eb8f4ab, v105
	v_fmac_f32_e32 v60, 0xbf7ba420, v67
	v_mov_b32_e32 v193, v105
	v_add_f32_e32 v60, v60, v4
	v_fmac_f32_e32 v193, 0x3f6eb680, v72
	v_add_f32_e32 v60, v193, v60
	v_mul_f32_e32 v193, 0xbe3c28d5, v59
	v_fma_f32 v59, v68, s15, -v193
	v_mul_f32_e32 v194, 0x3eb8f4ab, v78
	v_add_f32_e32 v59, v59, v5
	v_fma_f32 v78, v73, s12, -v194
	v_mul_f32_e32 v122, 0xbf06c442, v122
	v_add_f32_e32 v59, v78, v59
	v_mov_b32_e32 v78, v122
	v_fmac_f32_e32 v78, 0xbf59a7d5, v94
	v_mul_f32_e32 v195, 0xbf06c442, v121
	v_add_f32_e32 v60, v78, v60
	v_fma_f32 v78, v95, s14, -v195
	v_mul_f32_e32 v121, 0x3f2c7751, v132
	v_add_f32_e32 v59, v78, v59
	v_mov_b32_e32 v78, v121
	v_fmac_f32_e32 v78, 0x3f3d2fb0, v81
	;; [unrolled: 7-line block ×5, first 2 shown]
	v_mul_f32_e32 v198, 0xbf763a35, v199
	v_add_f32_e32 v60, v78, v60
	v_fma_f32 v78, v103, s5, -v198
	v_mul_f32_e32 v142, 0x3f7ee86f, v201
	v_add_f32_e32 v78, v78, v59
	v_mov_b32_e32 v59, v142
	v_mul_f32_e32 v199, 0x3f7ee86f, v202
	v_fmac_f32_e32 v59, 0x3dbcf732, v116
	v_add_f32_e32 v59, v59, v60
	v_fma_f32 v60, v119, s2, -v199
	v_add_f32_e32 v60, v60, v78
	v_mul_lo_u16_e32 v233, 17, v76
	s_barrier
	s_and_saveexec_b64 s[2:3], vcc
	s_cbranch_execz .LBB0_7
; %bb.6:
	v_mul_f32_e32 v201, 0x3f6eb680, v68
	v_mul_f32_e32 v203, 0x3f3d2fb0, v68
	v_mul_f32_e32 v205, 0x3ee437d1, v68
	v_mul_f32_e32 v207, 0x3dbcf732, v68
	v_mul_f32_e32 v209, 0xbe8c1d8e, v68
	v_mul_f32_e32 v211, 0xbf1a4643, v68
	v_mul_f32_e32 v213, 0xbf59a7d5, v68
	v_mul_f32_e32 v68, 0xbf7ba420, v68
	v_mul_f32_e32 v45, 0x3f6eb680, v67
	v_mul_f32_e32 v215, 0x3f3d2fb0, v73
	v_mul_f32_e32 v217, 0x3dbcf732, v73
	v_mul_f32_e32 v219, 0xbf1a4643, v73
	v_mul_f32_e32 v221, 0xbf7ba420, v73
	v_mul_f32_e32 v223, 0xbf59a7d5, v73
	v_mul_f32_e32 v225, 0xbe8c1d8e, v73
	v_mul_f32_e32 v227, 0x3ee437d1, v73
	v_mul_f32_e32 v73, 0x3f6eb680, v73
	v_add_f32_e32 v68, v193, v68
	buffer_store_dword v45, off, s[20:23], 0 ; 4-byte Folded Spill
	v_mul_f32_e32 v229, 0x3ee437d1, v95
	v_mul_f32_e32 v231, 0xbf1a4643, v95
	v_mov_b32_e32 v45, v43
	v_mov_b32_e32 v43, v41
	;; [unrolled: 1-line block ×3, first 2 shown]
	v_mul_f32_e32 v39, 0xbf7ba420, v95
	v_mul_f32_e32 v235, 0xbe8c1d8e, v95
	;; [unrolled: 1-line block ×6, first 2 shown]
	v_add_f32_e32 v73, v194, v73
	v_add_f32_e32 v68, v68, v5
	v_mul_f32_e32 v243, 0x3dbcf732, v82
	v_mul_f32_e32 v245, 0xbf7ba420, v82
	;; [unrolled: 1-line block ×8, first 2 shown]
	v_add_f32_e32 v68, v73, v68
	v_add_f32_e32 v73, v195, v95
	;; [unrolled: 1-line block ×5, first 2 shown]
	v_mul_f32_e32 v73, 0xbf1a4643, v92
	v_add_f32_e32 v73, v197, v73
	v_add_f32_e32 v68, v73, v68
	v_mul_f32_e32 v73, 0x3ee437d1, v99
	v_mul_f32_e32 v202, 0x3f3d2fb0, v67
	;; [unrolled: 1-line block ×8, first 2 shown]
	v_add_f32_e32 v73, v155, v73
	v_mul_f32_e32 v200, 0x3f3d2fb0, v72
	v_mul_f32_e32 v216, 0x3dbcf732, v72
	;; [unrolled: 1-line block ×8, first 2 shown]
	v_add_f32_e32 v68, v73, v68
	v_mul_f32_e32 v73, 0xbe8c1d8e, v103
	v_sub_f32_e32 v67, v67, v192
	v_mul_f32_e32 v228, 0x3ee437d1, v94
	v_mul_f32_e32 v230, 0xbf1a4643, v94
	;; [unrolled: 1-line block ×8, first 2 shown]
	v_add_f32_e32 v73, v198, v73
	v_sub_f32_e32 v72, v72, v105
	v_add_f32_e32 v67, v67, v4
	v_mul_f32_e32 v242, 0x3dbcf732, v81
	v_mul_f32_e32 v244, 0xbf7ba420, v81
	;; [unrolled: 1-line block ×8, first 2 shown]
	v_add_f32_e32 v68, v73, v68
	v_mul_f32_e32 v73, 0x3dbcf732, v119
	v_add_f32_e32 v67, v72, v67
	v_sub_f32_e32 v72, v94, v122
	v_mul_f32_e32 v254, 0xbe8c1d8e, v91
	v_mul_f32_e32 v255, 0xbf59a7d5, v91
	;; [unrolled: 1-line block ×4, first 2 shown]
	v_add_f32_e32 v73, v199, v73
	v_mul_f32_e32 v192, 0xbf7ba420, v91
	v_mul_f32_e32 v199, 0x3dbcf732, v91
	v_add_f32_e32 v67, v72, v67
	v_mul_f32_e32 v72, 0x3f6eb680, v91
	v_mul_f32_e32 v91, 0xbf1a4643, v91
	v_sub_f32_e32 v81, v81, v121
	v_add_f32_e32 v67, v81, v67
	v_sub_f32_e32 v81, v91, v128
	v_add_f32_e32 v67, v81, v67
	v_mul_f32_e32 v81, 0x3ee437d1, v98
	v_sub_f32_e32 v81, v81, v132
	v_add_f32_e32 v67, v81, v67
	v_mul_f32_e32 v81, 0xbe8c1d8e, v102
	;; [unrolled: 3-line block ×3, first 2 shown]
	v_sub_f32_e32 v81, v81, v142
	v_add_f32_e32 v68, v73, v68
	v_add_f32_e32 v73, v184, v213
	;; [unrolled: 1-line block ×7, first 2 shown]
	v_mul_f32_e32 v195, 0xbe8c1d8e, v92
	v_mul_f32_e32 v196, 0xbf59a7d5, v92
	;; [unrolled: 1-line block ×7, first 2 shown]
	v_add_f32_e32 v73, v185, v73
	v_add_f32_e32 v187, v187, v194
	v_mul_f32_e32 v122, 0xbf1a4643, v99
	v_mul_f32_e32 v132, 0xbe8c1d8e, v99
	;; [unrolled: 1-line block ×7, first 2 shown]
	v_add_f32_e32 v73, v187, v73
	v_add_f32_e32 v92, v188, v92
	v_sub_f32_e32 v176, v212, v176
	v_add_f32_e32 v73, v92, v73
	v_add_f32_e32 v92, v189, v99
	v_sub_f32_e32 v177, v226, v177
	v_add_f32_e32 v176, v176, v4
	v_add_f32_e32 v73, v92, v73
	v_mul_f32_e32 v92, 0x3f3d2fb0, v103
	v_add_f32_e32 v176, v177, v176
	v_sub_f32_e32 v178, v240, v178
	v_add_f32_e32 v92, v190, v92
	v_add_f32_e32 v176, v178, v176
	v_sub_f32_e32 v179, v193, v179
	v_mul_f32_e32 v121, 0xbf1a4643, v98
	v_mul_f32_e32 v128, 0xbe8c1d8e, v98
	;; [unrolled: 1-line block ×7, first 2 shown]
	v_add_f32_e32 v73, v92, v73
	v_mul_f32_e32 v92, 0xbe8c1d8e, v119
	v_add_f32_e32 v176, v179, v176
	v_sub_f32_e32 v72, v72, v180
	v_mul_f32_e32 v185, 0xbf59a7d5, v102
	v_mul_f32_e32 v187, 0x3ee437d1, v102
	;; [unrolled: 1-line block ×4, first 2 shown]
	v_add_f32_e32 v92, v191, v92
	v_mul_f32_e32 v191, 0x3f6eb680, v102
	v_mul_f32_e32 v177, 0xbf7ba420, v102
	;; [unrolled: 1-line block ×3, first 2 shown]
	v_add_f32_e32 v72, v72, v176
	v_sub_f32_e32 v98, v98, v181
	v_add_f32_e32 v72, v98, v72
	v_sub_f32_e32 v102, v102, v182
	v_add_f32_e32 v72, v102, v72
	v_mul_f32_e32 v102, 0xbe8c1d8e, v116
	v_sub_f32_e32 v102, v102, v183
	v_add_f32_e32 v73, v92, v73
	v_add_f32_e32 v92, v165, v211
	;; [unrolled: 1-line block ×11, first 2 shown]
	v_mul_f32_e32 v194, 0xbf59a7d5, v103
	v_mul_f32_e32 v188, 0x3ee437d1, v103
	;; [unrolled: 1-line block ×6, first 2 shown]
	v_add_f32_e32 v82, v82, v92
	v_add_f32_e32 v92, v173, v186
	v_mul_f32_e32 v178, 0xbf7ba420, v119
	v_mul_f32_e32 v179, 0x3f6eb680, v119
	v_mul_f32_e32 v176, 0xbf59a7d5, v119
	v_mul_f32_e32 v98, 0x3f3d2fb0, v119
	v_mul_f32_e32 v183, 0xbf1a4643, v119
	v_mul_f32_e32 v119, 0x3ee437d1, v119
	v_add_f32_e32 v82, v92, v82
	v_add_f32_e32 v92, v174, v103
	;; [unrolled: 1-line block ×5, first 2 shown]
	v_sub_f32_e32 v92, v210, v160
	v_add_f32_e32 v92, v92, v4
	v_sub_f32_e32 v102, v224, v161
	v_add_f32_e32 v92, v102, v92
	v_sub_f32_e32 v102, v238, v162
	v_add_f32_e32 v92, v102, v92
	v_sub_f32_e32 v102, v252, v163
	v_add_f32_e32 v92, v102, v92
	v_sub_f32_e32 v102, v199, v164
	v_add_f32_e32 v92, v102, v92
	v_sub_f32_e32 v81, v81, v167
	v_mul_f32_e32 v226, 0xbf7ba420, v116
	v_mul_f32_e32 v193, 0x3f6eb680, v116
	;; [unrolled: 1-line block ×6, first 2 shown]
	v_add_f32_e32 v81, v81, v92
	v_sub_f32_e32 v92, v177, v169
	v_add_f32_e32 v81, v92, v81
	v_sub_f32_e32 v92, v116, v171
	v_add_f32_e32 v81, v92, v81
	v_add_f32_e32 v92, v148, v209
	;; [unrolled: 1-line block ×17, first 2 shown]
	v_sub_f32_e32 v102, v208, v143
	v_add_f32_e32 v102, v102, v4
	v_sub_f32_e32 v103, v222, v144
	v_add_f32_e32 v102, v103, v102
	;; [unrolled: 2-line block ×8, first 2 shown]
	v_add_f32_e32 v102, v129, v207
	v_add_f32_e32 v102, v102, v5
	;; [unrolled: 1-line block ×16, first 2 shown]
	v_sub_f32_e32 v78, v206, v123
	v_add_f32_e32 v78, v78, v4
	v_sub_f32_e32 v98, v220, v124
	v_add_f32_e32 v78, v98, v78
	;; [unrolled: 2-line block ×8, first 2 shown]
	v_add_f32_e32 v78, v108, v205
	v_add_f32_e32 v78, v78, v5
	;; [unrolled: 1-line block ×5, first 2 shown]
	buffer_load_dword v39, off, s[20:23], 0 ; 4-byte Folded Reload
	v_add_f32_e32 v78, v98, v78
	v_add_f32_e32 v98, v113, v247
	;; [unrolled: 1-line block ×11, first 2 shown]
	v_sub_f32_e32 v78, v204, v100
	v_add_f32_e32 v78, v78, v4
	v_sub_f32_e32 v98, v218, v101
	v_add_f32_e32 v78, v98, v78
	;; [unrolled: 2-line block ×8, first 2 shown]
	v_add_f32_e32 v78, v83, v203
	v_sub_f32_e32 v70, v202, v70
	v_add_f32_e32 v40, v40, v201
	v_add_f32_e32 v78, v78, v5
	v_add_f32_e32 v70, v70, v4
	v_add_f32_e32 v40, v40, v5
	v_add_f32_e32 v5, v7, v5
	v_add_f32_e32 v5, v17, v5
	v_add_f32_e32 v5, v19, v5
	v_add_f32_e32 v5, v21, v5
	v_add_f32_e32 v5, v23, v5
	v_add_f32_e32 v5, v25, v5
	v_add_f32_e32 v5, v27, v5
	v_add_f32_e32 v5, v9, v5
	v_add_f32_e32 v42, v42, v215
	v_add_f32_e32 v5, v11, v5
	v_add_f32_e32 v83, v84, v217
	v_sub_f32_e32 v71, v216, v71
	v_add_f32_e32 v40, v42, v40
	v_add_f32_e32 v42, v44, v229
	v_add_f32_e32 v5, v13, v5
	v_add_f32_e32 v78, v83, v78
	v_add_f32_e32 v83, v86, v231
	v_add_f32_e32 v70, v71, v70
	v_sub_f32_e32 v71, v230, v74
	v_add_f32_e32 v40, v42, v40
	v_add_f32_e32 v42, v46, v243
	v_add_f32_e32 v5, v15, v5
	v_add_f32_e32 v78, v83, v78
	v_add_f32_e32 v83, v88, v245
	v_add_f32_e32 v70, v71, v70
	;; [unrolled: 7-line block ×5, first 2 shown]
	s_waitcnt vmcnt(0)
	v_sub_f32_e32 v39, v39, v41
	v_add_f32_e32 v39, v39, v4
	v_add_f32_e32 v4, v6, v4
	;; [unrolled: 1-line block ×9, first 2 shown]
	v_sub_f32_e32 v41, v200, v43
	v_add_f32_e32 v4, v10, v4
	v_add_f32_e32 v39, v41, v39
	v_sub_f32_e32 v41, v228, v45
	v_add_f32_e32 v4, v12, v4
	v_add_f32_e32 v39, v41, v39
	;; [unrolled: 3-line block ×5, first 2 shown]
	v_sub_f32_e32 v41, v185, v64
	v_add_f32_e32 v4, v32, v4
	v_sub_f32_e32 v71, v187, v87
	v_add_f32_e32 v40, v42, v40
	v_add_f32_e32 v42, v69, v178
	;; [unrolled: 1-line block ×3, first 2 shown]
	v_sub_f32_e32 v41, v226, v66
	v_add_f32_e32 v5, v35, v5
	v_add_f32_e32 v4, v34, v4
	;; [unrolled: 1-line block ×5, first 2 shown]
	v_sub_f32_e32 v71, v193, v89
	v_add_f32_e32 v40, v42, v40
	v_add_f32_e32 v39, v41, v39
	;; [unrolled: 1-line block ×4, first 2 shown]
	v_add_lshl_u32 v6, v38, v233, 3
	v_add_f32_e32 v84, v83, v78
	v_add_f32_e32 v83, v71, v70
	ds_write2_b64 v6, v[4:5], v[39:40] offset1:1
	ds_write2_b64 v6, v[83:84], v[98:99] offset0:2 offset1:3
	ds_write2_b64 v6, v[94:95], v[91:92] offset0:4 offset1:5
	;; [unrolled: 1-line block ×7, first 2 shown]
	ds_write_b64 v6, v[2:3] offset:128
.LBB0_7:
	s_or_b64 exec, exec, s[2:3]
	s_movk_i32 s4, 0xf1
	v_mul_lo_u16_sdwa v4, v76, s4 dst_sel:DWORD dst_unused:UNUSED_PAD src0_sel:BYTE_0 src1_sel:DWORD
	v_lshrrev_b16_e32 v34, 12, v4
	v_add_u16_e32 v4, 0x66, v76
	v_mul_lo_u16_e32 v8, 17, v34
	v_mul_lo_u16_sdwa v5, v4, s4 dst_sel:DWORD dst_unused:UNUSED_PAD src0_sel:BYTE_0 src1_sel:DWORD
	v_lshrrev_b16_e32 v35, 12, v5
	v_sub_u16_e32 v37, v76, v8
	v_mul_lo_u16_e32 v5, 17, v35
	v_lshlrev_b16_e32 v8, 1, v37
	v_add_u16_e32 v10, 51, v76
	v_mov_b32_e32 v9, 4
	v_sub_u16_e32 v36, v4, v5
	v_and_b32_e32 v8, 0xfe, v8
	v_mul_lo_u16_sdwa v11, v10, s4 dst_sel:DWORD dst_unused:UNUSED_PAD src0_sel:BYTE_0 src1_sel:DWORD
	v_lshlrev_b32_sdwa v4, v9, v36 dst_sel:DWORD dst_unused:UNUSED_PAD src0_sel:DWORD src1_sel:BYTE_0
	v_lshlrev_b32_e32 v8, 3, v8
	v_lshrrev_b16_e32 v39, 12, v11
	s_load_dwordx4 s[0:3], s[0:1], 0x0
	s_waitcnt lgkmcnt(0)
	s_barrier
	global_load_dwordx4 v[4:7], v4, s[10:11]
	v_add_lshl_u32 v80, v38, v76, 3
	global_load_dwordx4 v[12:15], v8, s[10:11]
	v_mul_lo_u16_e32 v8, 17, v39
	v_sub_u16_e32 v40, v10, v8
	v_lshlrev_b32_sdwa v8, v9, v40 dst_sel:DWORD dst_unused:UNUSED_PAD src0_sel:DWORD src1_sel:BYTE_0
	global_load_dwordx4 v[8:11], v8, s[10:11]
	ds_read2_b64 v[16:19], v80 offset1:51
	ds_read2_b64 v[20:23], v80 offset0:204 offset1:255
	ds_read2_b64 v[24:27], v80 offset0:102 offset1:153
	ds_read_b64 v[32:33], v80 offset:3264
	v_add_u32_e32 v41, 0x800, v80
	ds_read2_b64 v[28:31], v41 offset0:50 offset1:101
	v_mad_legacy_u16 v34, v34, 51, v37
	v_and_b32_e32 v34, 0xff, v34
	v_add_lshl_u32 v82, v38, v34, 3
	s_waitcnt vmcnt(0) lgkmcnt(0)
	s_barrier
	s_mov_b32 s4, 0xbf248dbb
	v_mul_f32_e32 v42, v23, v5
	v_mul_f32_e32 v43, v22, v5
	;; [unrolled: 1-line block ×4, first 2 shown]
	v_fma_f32 v42, v22, v4, -v42
	v_fmac_f32_e32 v43, v23, v4
	v_fma_f32 v44, v32, v6, -v44
	v_fmac_f32_e32 v45, v33, v6
	v_mul_f32_e32 v22, v27, v13
	v_mul_f32_e32 v23, v26, v13
	;; [unrolled: 1-line block ×5, first 2 shown]
	v_fma_f32 v22, v26, v12, -v22
	v_fmac_f32_e32 v23, v27, v12
	v_fma_f32 v26, v28, v14, -v32
	v_fmac_f32_e32 v33, v29, v14
	v_mul_f32_e32 v47, v20, v9
	v_mul_f32_e32 v61, v31, v11
	v_fmac_f32_e32 v62, v31, v10
	v_add_f32_e32 v29, v22, v26
	v_add_f32_e32 v31, v23, v33
	v_mul_f32_e32 v46, v21, v9
	v_fmac_f32_e32 v47, v21, v8
	v_fma_f32 v21, v30, v10, -v61
	v_add_f32_e32 v28, v16, v22
	v_add_f32_e32 v30, v17, v23
	v_fma_f32 v16, -0.5, v29, v16
	v_fma_f32 v17, -0.5, v31, v17
	v_fma_f32 v27, v20, v8, -v46
	v_sub_f32_e32 v32, v23, v33
	v_sub_f32_e32 v46, v22, v26
	v_add_f32_e32 v22, v28, v26
	v_mov_b32_e32 v28, v16
	v_mov_b32_e32 v29, v17
	v_add_f32_e32 v64, v42, v44
	v_add_f32_e32 v23, v30, v33
	v_fmac_f32_e32 v16, 0xbf5db3d7, v32
	v_fmac_f32_e32 v28, 0x3f5db3d7, v32
	;; [unrolled: 1-line block ×3, first 2 shown]
	v_add_f32_e32 v63, v24, v42
	v_add_f32_e32 v61, v18, v27
	v_fmac_f32_e32 v17, 0x3f5db3d7, v46
	v_fma_f32 v24, -0.5, v64, v24
	ds_write2_b64 v82, v[22:23], v[28:29] offset1:17
	ds_write_b64 v82, v[16:17] offset:272
	v_mul_u32_u24_e32 v16, 51, v39
	v_add_f32_e32 v20, v63, v44
	v_add_f32_e32 v63, v27, v21
	v_sub_f32_e32 v65, v47, v62
	v_add_f32_e32 v66, v19, v47
	v_add_f32_e32 v47, v47, v62
	v_sub_f32_e32 v67, v27, v21
	v_add_f32_e32 v26, v61, v21
	v_sub_f32_e32 v21, v43, v45
	v_mov_b32_e32 v32, v24
	v_add_f32_e32 v33, v43, v45
	v_add_u32_sdwa v16, v16, v40 dst_sel:DWORD dst_unused:UNUSED_PAD src0_sel:DWORD src1_sel:BYTE_0
	v_fma_f32 v18, -0.5, v63, v18
	v_fmac_f32_e32 v19, -0.5, v47
	v_fmac_f32_e32 v32, 0x3f5db3d7, v21
	v_fmac_f32_e32 v24, 0xbf5db3d7, v21
	v_add_f32_e32 v21, v25, v43
	v_fmac_f32_e32 v25, -0.5, v33
	v_add_lshl_u32 v83, v38, v16, 3
	v_mul_u32_u24_e32 v16, 51, v35
	v_mov_b32_e32 v30, v18
	v_mov_b32_e32 v31, v19
	v_sub_f32_e32 v42, v42, v44
	v_mov_b32_e32 v33, v25
	v_add_u32_sdwa v16, v16, v36 dst_sel:DWORD dst_unused:UNUSED_PAD src0_sel:DWORD src1_sel:BYTE_0
	v_add_f32_e32 v27, v66, v62
	v_fmac_f32_e32 v30, 0x3f5db3d7, v65
	v_fmac_f32_e32 v31, 0xbf5db3d7, v67
	v_add_f32_e32 v21, v21, v45
	v_fmac_f32_e32 v33, 0xbf5db3d7, v42
	v_add_lshl_u32 v84, v38, v16, 3
	v_fmac_f32_e32 v18, 0xbf5db3d7, v65
	v_fmac_f32_e32 v19, 0x3f5db3d7, v67
	;; [unrolled: 1-line block ×3, first 2 shown]
	ds_write2_b64 v83, v[26:27], v[30:31] offset1:17
	ds_write_b64 v83, v[18:19] offset:272
	ds_write2_b64 v84, v[20:21], v[32:33] offset1:17
	ds_write_b64 v84, v[24:25] offset:272
	v_lshlrev_b32_e32 v32, 6, v76
	s_waitcnt lgkmcnt(0)
	s_barrier
	global_load_dwordx4 v[28:31], v32, s[10:11] offset:272
	global_load_dwordx4 v[24:27], v32, s[10:11] offset:288
	;; [unrolled: 1-line block ×4, first 2 shown]
	ds_read2_b64 v[42:45], v80 offset1:51
	ds_read2_b64 v[32:35], v80 offset0:102 offset1:153
	ds_read2_b64 v[36:39], v80 offset0:204 offset1:255
	;; [unrolled: 1-line block ×3, first 2 shown]
	ds_read_b64 v[40:41], v80 offset:3264
	s_waitcnt vmcnt(3) lgkmcnt(4)
	v_mul_f32_e32 v46, v45, v29
	v_mul_f32_e32 v47, v44, v29
	s_waitcnt vmcnt(2) lgkmcnt(2)
	v_mul_f32_e32 v69, v37, v27
	s_waitcnt vmcnt(0) lgkmcnt(0)
	v_mul_f32_e32 v81, v41, v19
	v_mul_f32_e32 v85, v40, v19
	;; [unrolled: 1-line block ×11, first 2 shown]
	v_fma_f32 v44, v44, v28, -v46
	v_fmac_f32_e32 v47, v45, v28
	v_fma_f32 v45, v36, v26, -v69
	v_fma_f32 v36, v40, v18, -v81
	v_fmac_f32_e32 v85, v41, v18
	v_mul_f32_e32 v71, v39, v21
	v_mul_f32_e32 v74, v61, v23
	v_fma_f32 v32, v32, v30, -v65
	v_fmac_f32_e32 v66, v33, v30
	v_fma_f32 v33, v34, v24, -v67
	v_fmac_f32_e32 v68, v35, v24
	v_fmac_f32_e32 v70, v37, v26
	;; [unrolled: 1-line block ×3, first 2 shown]
	v_fma_f32 v34, v61, v22, -v73
	v_fma_f32 v35, v63, v16, -v78
	v_fmac_f32_e32 v79, v64, v16
	v_add_f32_e32 v63, v44, v36
	v_sub_f32_e32 v44, v44, v36
	v_sub_f32_e32 v61, v47, v85
	v_fma_f32 v65, v38, v20, -v71
	v_fmac_f32_e32 v74, v62, v22
	v_add_f32_e32 v67, v32, v35
	v_add_f32_e32 v69, v66, v79
	;; [unrolled: 1-line block ×3, first 2 shown]
	v_sub_f32_e32 v62, v32, v35
	v_sub_f32_e32 v66, v66, v79
	;; [unrolled: 1-line block ×3, first 2 shown]
	v_mul_f32_e32 v34, 0x3f248dbb, v44
	v_mul_f32_e32 v35, 0x3f248dbb, v61
	v_sub_f32_e32 v79, v70, v72
	v_add_f32_e32 v73, v68, v74
	v_sub_f32_e32 v68, v68, v74
	v_fmac_f32_e32 v34, 0x3f7c1c5c, v62
	v_fmac_f32_e32 v35, 0x3f7c1c5c, v66
	v_mul_f32_e32 v36, 0xbf248dbb, v79
	v_add_f32_e32 v64, v47, v85
	v_fmac_f32_e32 v34, 0x3f5db3d7, v78
	v_fmac_f32_e32 v35, 0x3f5db3d7, v68
	v_sub_f32_e32 v74, v45, v65
	v_mov_b32_e32 v32, v42
	v_mov_b32_e32 v33, v43
	v_fmac_f32_e32 v36, 0x3f7c1c5c, v61
	v_fmac_f32_e32 v34, 0x3eaf1d44, v74
	;; [unrolled: 1-line block ×5, first 2 shown]
	v_mul_f32_e32 v37, 0xbf248dbb, v74
	v_fmac_f32_e32 v36, 0xbf5db3d7, v68
	v_add_f32_e32 v40, v74, v44
	v_add_f32_e32 v41, v79, v61
	v_mul_f32_e32 v74, 0x3f7c1c5c, v74
	v_mul_f32_e32 v79, 0x3f7c1c5c, v79
	v_fmac_f32_e32 v32, 0x3e31d0d4, v67
	v_fmac_f32_e32 v33, 0x3e31d0d4, v69
	;; [unrolled: 1-line block ×3, first 2 shown]
	v_sub_f32_e32 v47, v41, v66
	v_fma_f32 v74, v62, s4, -v74
	v_fma_f32 v66, v66, s4, -v79
	v_fmac_f32_e32 v32, -0.5, v71
	v_fmac_f32_e32 v33, -0.5, v73
	v_add_f32_e32 v81, v45, v65
	v_add_f32_e32 v85, v70, v72
	;; [unrolled: 1-line block ×4, first 2 shown]
	v_fmac_f32_e32 v74, 0x3f5db3d7, v78
	v_fmac_f32_e32 v66, 0x3f5db3d7, v68
	;; [unrolled: 1-line block ×7, first 2 shown]
	v_add_f32_e32 v44, v71, v88
	v_add_f32_e32 v61, v73, v89
	;; [unrolled: 1-line block ×3, first 2 shown]
	v_sub_f32_e32 v33, v33, v34
	v_add_f32_e32 v44, v45, v44
	v_add_f32_e32 v45, v70, v61
	v_fma_f32 v38, -2.0, v35, v32
	v_fma_f32 v39, 2.0, v34, v33
	v_fmac_f32_e32 v37, 0xbf5db3d7, v78
	v_mov_b32_e32 v34, v42
	v_mov_b32_e32 v35, v43
	v_add_f32_e32 v44, v65, v44
	v_add_f32_e32 v45, v72, v45
	v_fmac_f32_e32 v37, 0x3eaf1d44, v62
	v_fmac_f32_e32 v34, 0x3f441b7d, v81
	;; [unrolled: 1-line block ×3, first 2 shown]
	v_sub_f32_e32 v46, v40, v62
	v_add_f32_e32 v40, v71, v42
	v_add_f32_e32 v41, v73, v43
	;; [unrolled: 1-line block ×4, first 2 shown]
	v_fmac_f32_e32 v42, 0x3f441b7d, v67
	v_fmac_f32_e32 v43, 0x3f441b7d, v69
	;; [unrolled: 1-line block ×6, first 2 shown]
	v_fmac_f32_e32 v34, -0.5, v71
	v_fmac_f32_e32 v35, -0.5, v73
	v_add_f32_e32 v90, v81, v88
	v_add_f32_e32 v91, v85, v89
	v_fmac_f32_e32 v42, -0.5, v71
	v_fmac_f32_e32 v43, -0.5, v73
	v_fmac_f32_e32 v34, 0xbf708fb2, v67
	v_fmac_f32_e32 v35, 0xbf708fb2, v69
	v_fmac_f32_e32 v40, -0.5, v90
	v_fmac_f32_e32 v41, -0.5, v91
	v_fmac_f32_e32 v42, 0xbf708fb2, v63
	v_fmac_f32_e32 v43, 0xbf708fb2, v64
	v_add_f32_e32 v34, v36, v34
	v_sub_f32_e32 v35, v35, v37
	v_mul_f32_e32 v86, 0x3f5db3d7, v46
	v_mul_f32_e32 v87, 0x3f5db3d7, v47
	v_fmac_f32_e32 v40, 0x3f5db3d7, v47
	v_fmac_f32_e32 v41, 0xbf5db3d7, v46
	v_add_f32_e32 v42, v66, v42
	v_sub_f32_e32 v43, v43, v74
	v_lshl_add_u32 v79, v76, 3, v77
	v_fma_f32 v36, -2.0, v36, v34
	v_fma_f32 v37, 2.0, v37, v35
	v_fma_f32 v46, -2.0, v87, v40
	v_fma_f32 v47, 2.0, v86, v41
	;; [unrolled: 2-line block ×3, first 2 shown]
	v_lshl_add_u32 v81, v76, 3, v77
	v_add_u32_e32 v64, 0x400, v79
	v_add_u32_e32 v63, 0x800, v79
	ds_write_b64 v81, v[61:62]
	ds_write2_b64 v79, v[32:33], v[34:35] offset0:51 offset1:102
	ds_write2_b64 v79, v[40:41], v[42:43] offset0:153 offset1:204
	ds_write2_b64 v64, v[44:45], v[46:47] offset0:127 offset1:178
	ds_write2_b64 v63, v[36:37], v[38:39] offset0:101 offset1:152
	s_waitcnt lgkmcnt(0)
	s_barrier
	s_and_saveexec_b64 s[4:5], vcc
	s_cbranch_execz .LBB0_9
; %bb.8:
	global_load_dwordx2 v[65:66], v75, s[6:7] offset:3672
	s_add_u32 s10, s6, 0xe58
	s_addc_u32 s11, s7, 0
	global_load_dwordx2 v[73:74], v75, s[10:11] offset:216
	global_load_dwordx2 v[105:106], v75, s[10:11] offset:432
	;; [unrolled: 1-line block ×14, first 2 shown]
	ds_read_b64 v[67:68], v81
	global_load_dwordx2 v[131:132], v75, s[10:11] offset:3240
	global_load_dwordx2 v[133:134], v75, s[10:11] offset:3456
	s_waitcnt vmcnt(16) lgkmcnt(0)
	v_mul_f32_e32 v69, v68, v66
	v_mul_f32_e32 v70, v67, v66
	v_fma_f32 v69, v67, v65, -v69
	v_fmac_f32_e32 v70, v68, v65
	ds_write_b64 v81, v[69:70]
	ds_read2_b64 v[65:68], v79 offset0:27 offset1:54
	ds_read2_b64 v[69:72], v79 offset0:81 offset1:108
	;; [unrolled: 1-line block ×7, first 2 shown]
	s_waitcnt vmcnt(15) lgkmcnt(6)
	v_mul_f32_e32 v78, v66, v74
	v_mul_f32_e32 v136, v65, v74
	s_waitcnt vmcnt(14)
	v_mul_f32_e32 v137, v68, v106
	v_mul_f32_e32 v74, v67, v106
	s_waitcnt vmcnt(13) lgkmcnt(5)
	v_mul_f32_e32 v138, v70, v108
	v_mul_f32_e32 v106, v69, v108
	s_waitcnt vmcnt(12)
	v_mul_f32_e32 v139, v72, v110
	v_mul_f32_e32 v108, v71, v110
	;; [unrolled: 6-line block ×6, first 2 shown]
	v_fma_f32 v135, v65, v73, -v78
	v_fmac_f32_e32 v136, v66, v73
	v_fma_f32 v73, v67, v105, -v137
	v_fmac_f32_e32 v74, v68, v105
	;; [unrolled: 2-line block ×12, first 2 shown]
	ds_write2_b64 v79, v[135:136], v[73:74] offset0:27 offset1:54
	ds_write2_b64 v79, v[105:106], v[107:108] offset0:81 offset1:108
	;; [unrolled: 1-line block ×6, first 2 shown]
	ds_read2_b64 v[64:67], v63 offset0:149 offset1:176
	s_waitcnt vmcnt(3) lgkmcnt(7)
	v_mul_f32_e32 v148, v102, v128
	v_mul_f32_e32 v126, v101, v128
	s_waitcnt vmcnt(2)
	v_mul_f32_e32 v128, v104, v130
	v_mul_f32_e32 v69, v103, v130
	v_fma_f32 v125, v101, v127, -v148
	v_fmac_f32_e32 v126, v102, v127
	v_fma_f32 v68, v103, v129, -v128
	v_fmac_f32_e32 v69, v104, v129
	ds_write2_b64 v63, v[125:126], v[68:69] offset0:95 offset1:122
	s_waitcnt vmcnt(1) lgkmcnt(1)
	v_mul_f32_e32 v68, v65, v132
	v_mul_f32_e32 v69, v64, v132
	v_fma_f32 v68, v64, v131, -v68
	v_fmac_f32_e32 v69, v65, v131
	s_waitcnt vmcnt(0)
	v_mul_f32_e32 v64, v67, v134
	v_mul_f32_e32 v65, v66, v134
	v_fma_f32 v64, v66, v133, -v64
	v_fmac_f32_e32 v65, v67, v133
	ds_write2_b64 v63, v[68:69], v[64:65] offset0:149 offset1:176
.LBB0_9:
	s_or_b64 exec, exec, s[4:5]
	s_waitcnt lgkmcnt(0)
	s_barrier
	s_and_saveexec_b64 s[4:5], vcc
	s_cbranch_execz .LBB0_11
; %bb.10:
	ds_read_b64 v[61:62], v81
	ds_read2_b64 v[32:35], v81 offset0:27 offset1:54
	ds_read2_b64 v[40:43], v81 offset0:81 offset1:108
	;; [unrolled: 1-line block ×4, first 2 shown]
	v_add_u32_e32 v0, 0x400, v81
	ds_read2_b64 v[49:52], v0 offset0:115 offset1:142
	v_add_u32_e32 v0, 0x800, v81
	ds_read2_b64 v[63:66], v0 offset0:41 offset1:68
	ds_read2_b64 v[67:70], v0 offset0:95 offset1:122
	;; [unrolled: 1-line block ×3, first 2 shown]
	s_waitcnt lgkmcnt(2)
	v_mov_b32_e32 v55, v63
	v_mov_b32_e32 v59, v49
	;; [unrolled: 1-line block ×8, first 2 shown]
	s_waitcnt lgkmcnt(1)
	v_mov_b32_e32 v51, v67
	v_mov_b32_e32 v52, v68
	;; [unrolled: 1-line block ×4, first 2 shown]
.LBB0_11:
	s_or_b64 exec, exec, s[4:5]
	s_waitcnt lgkmcnt(0)
	s_barrier
	s_and_saveexec_b64 s[4:5], vcc
	s_cbranch_execz .LBB0_13
; %bb.12:
	v_add_f32_e32 v78, v3, v33
	v_mul_f32_e32 v101, 0xbf7ba420, v78
	v_add_f32_e32 v127, v1, v35
	v_sub_f32_e32 v85, v32, v2
	v_mov_b32_e32 v63, v101
	v_mul_f32_e32 v102, 0x3f6eb680, v127
	v_fmac_f32_e32 v63, 0x3e3c28d5, v85
	v_sub_f32_e32 v86, v34, v0
	v_mov_b32_e32 v64, v102
	v_add_f32_e32 v128, v50, v41
	v_add_f32_e32 v63, v62, v63
	v_fmac_f32_e32 v64, 0xbeb8f4ab, v86
	v_mul_f32_e32 v103, 0xbf59a7d5, v128
	v_add_f32_e32 v63, v64, v63
	v_sub_f32_e32 v87, v40, v49
	v_mov_b32_e32 v64, v103
	v_add_f32_e32 v129, v52, v43
	v_fmac_f32_e32 v64, 0x3f06c442, v87
	v_mul_f32_e32 v104, 0x3f3d2fb0, v129
	v_add_f32_e32 v63, v64, v63
	v_sub_f32_e32 v88, v42, v51
	v_mov_b32_e32 v64, v104
	;; [unrolled: 6-line block ×6, first 2 shown]
	v_sub_f32_e32 v134, v33, v3
	v_fmac_f32_e32 v64, 0xbf7ee86f, v92
	v_mul_f32_e32 v109, 0xbe3c28d5, v134
	v_sub_f32_e32 v135, v35, v1
	v_add_f32_e32 v64, v64, v63
	v_add_f32_e32 v93, v2, v32
	v_mov_b32_e32 v63, v109
	v_mul_f32_e32 v110, 0x3eb8f4ab, v135
	v_fmac_f32_e32 v63, 0xbf7ba420, v93
	v_add_f32_e32 v94, v0, v34
	v_mov_b32_e32 v65, v110
	v_sub_f32_e32 v136, v41, v50
	v_add_f32_e32 v63, v61, v63
	v_fmac_f32_e32 v65, 0x3f6eb680, v94
	v_mul_f32_e32 v111, 0xbf06c442, v136
	v_add_f32_e32 v63, v65, v63
	v_add_f32_e32 v95, v49, v40
	v_mov_b32_e32 v65, v111
	v_sub_f32_e32 v137, v43, v52
	v_fmac_f32_e32 v65, 0xbf59a7d5, v95
	v_mul_f32_e32 v112, 0x3f2c7751, v137
	v_add_f32_e32 v63, v65, v63
	v_add_f32_e32 v96, v51, v42
	v_mov_b32_e32 v65, v112
	v_sub_f32_e32 v138, v45, v54
	;; [unrolled: 6-line block ×5, first 2 shown]
	v_fmac_f32_e32 v65, 0xbe8c1d8e, v99
	v_mul_f32_e32 v116, 0x3f7ee86f, v141
	v_add_f32_e32 v63, v65, v63
	v_add_f32_e32 v100, v59, v38
	v_mov_b32_e32 v65, v116
	v_fmac_f32_e32 v65, 0x3dbcf732, v100
	v_mul_f32_e32 v117, 0xbf59a7d5, v78
	v_add_f32_e32 v63, v65, v63
	v_mov_b32_e32 v65, v117
	v_mul_f32_e32 v118, 0x3ee437d1, v127
	v_fmac_f32_e32 v65, 0x3f06c442, v85
	v_mov_b32_e32 v66, v118
	v_add_f32_e32 v65, v62, v65
	v_fmac_f32_e32 v66, 0xbf65296c, v86
	v_mul_f32_e32 v119, 0x3dbcf732, v128
	v_add_f32_e32 v65, v66, v65
	v_mov_b32_e32 v66, v119
	v_fmac_f32_e32 v66, 0x3f7ee86f, v87
	v_mul_f32_e32 v120, 0xbf1a4643, v129
	v_add_f32_e32 v65, v66, v65
	v_mov_b32_e32 v66, v120
	v_fmac_f32_e32 v66, 0xbf4c4adb, v88
	v_mul_f32_e32 v121, 0x3f6eb680, v130
	v_add_f32_e32 v65, v66, v65
	v_mov_b32_e32 v66, v121
	v_fmac_f32_e32 v66, 0x3eb8f4ab, v89
	v_mul_f32_e32 v122, 0xbf7ba420, v131
	v_add_f32_e32 v65, v66, v65
	v_mov_b32_e32 v66, v122
	v_fmac_f32_e32 v66, 0x3e3c28d5, v90
	v_mul_f32_e32 v123, 0x3f3d2fb0, v132
	v_add_f32_e32 v65, v66, v65
	v_mov_b32_e32 v66, v123
	v_fmac_f32_e32 v66, 0xbf2c7751, v91
	v_mul_f32_e32 v124, 0xbe8c1d8e, v133
	v_add_f32_e32 v65, v66, v65
	v_mov_b32_e32 v66, v124
	v_fmac_f32_e32 v66, 0x3f763a35, v92
	v_mul_f32_e32 v142, 0xbf06c442, v134
	v_add_f32_e32 v66, v66, v65
	v_mov_b32_e32 v65, v142
	v_mul_f32_e32 v143, 0x3f65296c, v135
	v_fmac_f32_e32 v65, 0xbf59a7d5, v93
	v_mov_b32_e32 v67, v143
	v_add_f32_e32 v65, v61, v65
	v_fmac_f32_e32 v67, 0x3ee437d1, v94
	v_mul_f32_e32 v144, 0xbf7ee86f, v136
	v_add_f32_e32 v65, v67, v65
	v_mov_b32_e32 v67, v144
	v_fmac_f32_e32 v67, 0x3dbcf732, v95
	v_mul_f32_e32 v145, 0x3f4c4adb, v137
	v_add_f32_e32 v65, v67, v65
	v_mov_b32_e32 v67, v145
	v_fmac_f32_e32 v67, 0xbf1a4643, v96
	v_mul_f32_e32 v146, 0xbeb8f4ab, v138
	v_add_f32_e32 v65, v67, v65
	v_mov_b32_e32 v67, v146
	v_fmac_f32_e32 v67, 0x3f6eb680, v97
	v_mul_f32_e32 v147, 0xbe3c28d5, v139
	v_add_f32_e32 v65, v67, v65
	v_mov_b32_e32 v67, v147
	v_fmac_f32_e32 v67, 0xbf7ba420, v98
	v_mul_f32_e32 v148, 0x3f2c7751, v140
	v_add_f32_e32 v65, v67, v65
	v_mov_b32_e32 v67, v148
	v_fmac_f32_e32 v67, 0x3f3d2fb0, v99
	v_mul_f32_e32 v149, 0xbf763a35, v141
	;; [unrolled: 32-line block ×4, first 2 shown]
	v_add_f32_e32 v67, v69, v67
	v_mov_b32_e32 v69, v165
	v_fmac_f32_e32 v69, 0x3ee437d1, v100
	v_mul_f32_e32 v166, 0xbe8c1d8e, v78
	v_add_f32_e32 v67, v69, v67
	v_mov_b32_e32 v69, v166
	v_mul_f32_e32 v167, 0xbf59a7d5, v127
	v_fmac_f32_e32 v69, 0x3f763a35, v85
	v_mov_b32_e32 v70, v167
	v_add_f32_e32 v69, v62, v69
	v_fmac_f32_e32 v70, 0xbf06c442, v86
	v_mul_f32_e32 v168, 0x3f3d2fb0, v128
	v_add_f32_e32 v69, v70, v69
	v_mov_b32_e32 v70, v168
	v_fmac_f32_e32 v70, 0xbf2c7751, v87
	v_mul_f32_e32 v169, 0x3ee437d1, v129
	v_add_f32_e32 v69, v70, v69
	v_mov_b32_e32 v70, v169
	;; [unrolled: 4-line block ×3, first 2 shown]
	v_add_f32_e32 v33, v33, v62
	v_fmac_f32_e32 v70, 0x3e3c28d5, v89
	v_mul_f32_e32 v171, 0x3dbcf732, v131
	v_add_f32_e32 v33, v35, v33
	v_add_f32_e32 v69, v70, v69
	v_mov_b32_e32 v70, v171
	v_add_f32_e32 v33, v41, v33
	v_fmac_f32_e32 v70, 0xbf7ee86f, v90
	v_mul_f32_e32 v172, 0x3f6eb680, v132
	v_add_f32_e32 v33, v43, v33
	v_add_f32_e32 v69, v70, v69
	v_mov_b32_e32 v70, v172
	;; [unrolled: 6-line block ×4, first 2 shown]
	v_mul_f32_e32 v175, 0x3f06c442, v135
	v_add_f32_e32 v33, v60, v33
	v_fmac_f32_e32 v69, 0xbe8c1d8e, v93
	v_mov_b32_e32 v71, v175
	v_add_f32_e32 v33, v58, v33
	v_add_f32_e32 v69, v61, v69
	v_fmac_f32_e32 v71, 0xbf59a7d5, v94
	v_mul_f32_e32 v176, 0x3f2c7751, v136
	v_add_f32_e32 v33, v56, v33
	v_add_f32_e32 v69, v71, v69
	v_mov_b32_e32 v71, v176
	v_add_f32_e32 v33, v54, v33
	v_fmac_f32_e32 v71, 0x3f3d2fb0, v95
	v_mul_f32_e32 v177, 0xbf65296c, v137
	v_add_f32_e32 v33, v52, v33
	v_add_f32_e32 v69, v71, v69
	v_mov_b32_e32 v71, v177
	;; [unrolled: 6-line block ×3, first 2 shown]
	v_add_f32_e32 v1, v3, v1
	v_add_f32_e32 v3, v32, v61
	v_fmac_f32_e32 v71, 0xbf7ba420, v97
	v_mul_f32_e32 v179, 0x3f7ee86f, v139
	v_add_f32_e32 v3, v34, v3
	v_add_f32_e32 v69, v71, v69
	v_mov_b32_e32 v71, v179
	v_add_f32_e32 v3, v40, v3
	v_fmac_f32_e32 v71, 0x3dbcf732, v98
	v_mul_f32_e32 v180, 0xbeb8f4ab, v140
	v_add_f32_e32 v3, v42, v3
	v_add_f32_e32 v69, v71, v69
	v_mov_b32_e32 v71, v180
	;; [unrolled: 6-line block ×4, first 2 shown]
	v_mul_f32_e32 v183, 0xbf7ba420, v127
	v_add_f32_e32 v3, v59, v3
	v_fmac_f32_e32 v71, 0x3f7ee86f, v85
	v_mov_b32_e32 v72, v183
	v_add_f32_e32 v3, v57, v3
	v_add_f32_e32 v71, v62, v71
	v_fmac_f32_e32 v72, 0x3e3c28d5, v86
	v_mul_f32_e32 v184, 0xbe8c1d8e, v128
	v_add_f32_e32 v3, v55, v3
	v_add_f32_e32 v71, v72, v71
	v_mov_b32_e32 v72, v184
	v_add_f32_e32 v3, v53, v3
	v_fmac_f32_e32 v72, 0xbf763a35, v87
	v_mul_f32_e32 v185, 0x3f6eb680, v129
	v_add_f32_e32 v3, v51, v3
	v_add_f32_e32 v71, v72, v71
	v_mov_b32_e32 v72, v185
	v_add_f32_e32 v3, v49, v3
	v_fmac_f32_e32 v72, 0xbeb8f4ab, v88
	v_mul_f32_e32 v186, 0x3ee437d1, v130
	v_add_f32_e32 v0, v0, v3
	v_fmac_f32_e32 v101, 0xbe3c28d5, v85
	v_add_f32_e32 v71, v72, v71
	v_mov_b32_e32 v72, v186
	v_add_f32_e32 v0, v2, v0
	v_add_f32_e32 v2, v62, v101
	v_fmac_f32_e32 v102, 0x3eb8f4ab, v86
	v_fmac_f32_e32 v72, 0x3f65296c, v89
	v_mul_f32_e32 v187, 0xbf59a7d5, v131
	v_add_f32_e32 v2, v102, v2
	v_fmac_f32_e32 v103, 0xbf06c442, v87
	v_add_f32_e32 v71, v72, v71
	v_mov_b32_e32 v72, v187
	v_add_f32_e32 v2, v103, v2
	v_fmac_f32_e32 v104, 0x3f2c7751, v88
	v_fmac_f32_e32 v72, 0x3f06c442, v90
	v_mul_f32_e32 v188, 0xbf1a4643, v132
	v_add_f32_e32 v2, v104, v2
	v_fmac_f32_e32 v105, 0xbf4c4adb, v89
	v_add_f32_e32 v71, v72, v71
	v_mov_b32_e32 v72, v188
	v_add_f32_e32 v2, v105, v2
	v_fmac_f32_e32 v106, 0x3f65296c, v90
	v_fmac_f32_e32 v72, 0xbf4c4adb, v91
	v_mul_f32_e32 v189, 0x3f3d2fb0, v133
	v_add_f32_e32 v2, v106, v2
	v_fmac_f32_e32 v107, 0xbf763a35, v91
	s_mov_b32 s10, 0xbf7ba420
	v_add_f32_e32 v71, v72, v71
	v_mov_b32_e32 v72, v189
	v_add_f32_e32 v2, v107, v2
	v_fmac_f32_e32 v108, 0x3f7ee86f, v92
	v_fmac_f32_e32 v72, 0xbf2c7751, v92
	v_mul_f32_e32 v190, 0xbf7ee86f, v134
	v_add_f32_e32 v3, v108, v2
	v_fma_f32 v2, v93, s10, -v109
	s_mov_b32 s11, 0xbf59a7d5
	v_add_f32_e32 v72, v72, v71
	v_mov_b32_e32 v71, v190
	v_mul_f32_e32 v191, 0xbe3c28d5, v135
	v_add_f32_e32 v2, v61, v2
	v_fma_f32 v32, v94, s12, -v110
	s_mov_b32 s14, 0x3f3d2fb0
	v_fmac_f32_e32 v71, 0x3dbcf732, v93
	v_mov_b32_e32 v73, v191
	v_add_f32_e32 v2, v32, v2
	v_fma_f32 v32, v95, s11, -v111
	v_add_f32_e32 v71, v61, v71
	v_fmac_f32_e32 v73, 0xbf7ba420, v94
	v_mul_f32_e32 v192, 0x3f763a35, v136
	v_add_f32_e32 v2, v32, v2
	v_fma_f32 v32, v96, s14, -v112
	s_mov_b32 s15, 0x3ee437d1
	v_add_f32_e32 v71, v73, v71
	v_mov_b32_e32 v73, v192
	v_add_f32_e32 v2, v32, v2
	v_fma_f32 v32, v97, s13, -v113
	s_mov_b32 s16, 0xbe8c1d8e
	v_fmac_f32_e32 v73, 0xbe8c1d8e, v95
	v_mul_f32_e32 v193, 0x3eb8f4ab, v137
	v_add_f32_e32 v2, v32, v2
	v_fma_f32 v32, v98, s15, -v114
	s_mov_b32 s17, 0x3dbcf732
	v_add_f32_e32 v71, v73, v71
	v_mov_b32_e32 v73, v193
	v_add_f32_e32 v2, v32, v2
	v_fma_f32 v32, v99, s16, -v115
	v_fmac_f32_e32 v73, 0x3f6eb680, v96
	v_mul_f32_e32 v194, 0xbf65296c, v138
	v_add_f32_e32 v2, v32, v2
	v_fma_f32 v32, v100, s17, -v116
	v_fmac_f32_e32 v117, 0xbf06c442, v85
	v_add_f32_e32 v71, v73, v71
	v_mov_b32_e32 v73, v194
	v_add_f32_e32 v2, v32, v2
	v_add_f32_e32 v32, v62, v117
	v_fmac_f32_e32 v118, 0x3f65296c, v86
	v_fmac_f32_e32 v73, 0x3ee437d1, v97
	v_mul_f32_e32 v195, 0xbf06c442, v139
	v_add_f32_e32 v32, v118, v32
	v_fmac_f32_e32 v119, 0xbf7ee86f, v87
	v_add_f32_e32 v71, v73, v71
	v_mov_b32_e32 v73, v195
	v_add_f32_e32 v32, v119, v32
	v_fmac_f32_e32 v120, 0x3f4c4adb, v88
	v_fmac_f32_e32 v73, 0xbf59a7d5, v98
	v_mul_f32_e32 v196, 0x3f4c4adb, v140
	v_add_f32_e32 v32, v120, v32
	v_fmac_f32_e32 v121, 0xbeb8f4ab, v89
	v_add_f32_e32 v71, v73, v71
	v_mov_b32_e32 v73, v196
	v_add_f32_e32 v32, v121, v32
	v_fmac_f32_e32 v122, 0xbe3c28d5, v90
	v_fmac_f32_e32 v73, 0xbf1a4643, v99
	v_mul_f32_e32 v197, 0x3f2c7751, v141
	v_add_f32_e32 v32, v122, v32
	v_fmac_f32_e32 v123, 0x3f2c7751, v91
	v_add_f32_e32 v71, v73, v71
	v_mov_b32_e32 v73, v197
	v_add_f32_e32 v32, v123, v32
	v_fmac_f32_e32 v124, 0xbf763a35, v92
	v_fmac_f32_e32 v73, 0x3f3d2fb0, v100
	v_mul_f32_e32 v198, 0x3ee437d1, v78
	v_add_f32_e32 v33, v124, v32
	v_fma_f32 v32, v93, s11, -v142
	v_add_f32_e32 v71, v73, v71
	v_mov_b32_e32 v73, v198
	v_mul_f32_e32 v199, 0xbf1a4643, v127
	v_add_f32_e32 v32, v61, v32
	v_fma_f32 v34, v94, s15, -v143
	v_fmac_f32_e32 v73, 0x3f65296c, v85
	v_mov_b32_e32 v74, v199
	v_add_f32_e32 v32, v34, v32
	v_fma_f32 v34, v95, s17, -v144
	v_add_f32_e32 v73, v62, v73
	v_fmac_f32_e32 v74, 0x3f4c4adb, v86
	v_mul_f32_e32 v200, 0xbf7ba420, v128
	v_add_f32_e32 v32, v34, v32
	v_fma_f32 v34, v96, s13, -v145
	v_add_f32_e32 v73, v74, v73
	v_mov_b32_e32 v74, v200
	v_add_f32_e32 v32, v34, v32
	v_fma_f32 v34, v97, s12, -v146
	v_fmac_f32_e32 v74, 0xbe3c28d5, v87
	v_mul_f32_e32 v201, 0xbe8c1d8e, v129
	v_add_f32_e32 v32, v34, v32
	v_fma_f32 v34, v98, s10, -v147
	v_add_f32_e32 v73, v74, v73
	v_mov_b32_e32 v74, v201
	v_add_f32_e32 v32, v34, v32
	v_fma_f32 v34, v99, s14, -v148
	v_fmac_f32_e32 v74, 0xbf763a35, v88
	v_mul_f32_e32 v202, 0x3f3d2fb0, v130
	v_add_f32_e32 v32, v34, v32
	v_fma_f32 v34, v100, s16, -v149
	v_fmac_f32_e32 v150, 0xbf4c4adb, v85
	v_add_f32_e32 v73, v74, v73
	v_mov_b32_e32 v74, v202
	v_add_f32_e32 v32, v34, v32
	v_add_f32_e32 v34, v62, v150
	v_fmac_f32_e32 v151, 0x3f763a35, v86
	v_fmac_f32_e32 v74, 0xbf2c7751, v89
	v_mul_f32_e32 v203, 0x3f6eb680, v131
	v_add_f32_e32 v34, v151, v34
	v_fmac_f32_e32 v152, 0xbeb8f4ab, v87
	v_add_f32_e32 v73, v74, v73
	v_mov_b32_e32 v74, v203
	v_add_f32_e32 v34, v152, v34
	v_fmac_f32_e32 v153, 0xbf06c442, v88
	v_fmac_f32_e32 v74, 0x3eb8f4ab, v90
	v_mul_f32_e32 v204, 0x3dbcf732, v132
	v_add_f32_e32 v34, v153, v34
	v_fmac_f32_e32 v154, 0x3f7ee86f, v89
	v_add_f32_e32 v73, v74, v73
	v_mov_b32_e32 v74, v204
	v_add_f32_e32 v34, v154, v34
	v_fmac_f32_e32 v155, 0xbf2c7751, v90
	v_fmac_f32_e32 v74, 0x3f7ee86f, v91
	v_mul_f32_e32 v205, 0xbf59a7d5, v133
	v_add_f32_e32 v34, v155, v34
	v_fmac_f32_e32 v156, 0xbe3c28d5, v91
	v_add_f32_e32 v73, v74, v73
	v_mov_b32_e32 v74, v205
	v_add_f32_e32 v34, v156, v34
	v_fmac_f32_e32 v157, 0x3f65296c, v92
	v_fmac_f32_e32 v74, 0x3f06c442, v92
	v_mul_f32_e32 v206, 0xbf65296c, v134
	v_add_f32_e32 v35, v157, v34
	v_fma_f32 v34, v93, s13, -v158
	v_add_f32_e32 v74, v74, v73
	v_mov_b32_e32 v73, v206
	v_mul_f32_e32 v207, 0xbf4c4adb, v135
	v_add_f32_e32 v34, v61, v34
	v_fma_f32 v36, v94, s16, -v159
	v_fmac_f32_e32 v73, 0x3ee437d1, v93
	v_mov_b32_e32 v125, v207
	v_add_f32_e32 v34, v36, v34
	v_fma_f32 v36, v95, s12, -v160
	v_add_f32_e32 v73, v61, v73
	v_fmac_f32_e32 v125, 0xbf1a4643, v94
	v_mul_f32_e32 v208, 0x3e3c28d5, v136
	v_add_f32_e32 v34, v36, v34
	v_fma_f32 v36, v96, s11, -v161
	v_add_f32_e32 v73, v125, v73
	v_mov_b32_e32 v125, v208
	v_add_f32_e32 v34, v36, v34
	v_fma_f32 v36, v97, s17, -v162
	v_fmac_f32_e32 v125, 0xbf7ba420, v95
	v_mul_f32_e32 v209, 0x3f763a35, v137
	v_add_f32_e32 v34, v36, v34
	v_fma_f32 v36, v98, s14, -v163
	;; [unrolled: 64-line block ×3, first 2 shown]
	v_add_f32_e32 v125, v126, v125
	v_mov_b32_e32 v126, v217
	v_add_f32_e32 v36, v38, v36
	v_fma_f32 v38, v99, s12, -v180
	v_fmac_f32_e32 v126, 0x3e3c28d5, v88
	v_mul_f32_e32 v218, 0xbf59a7d5, v130
	v_add_f32_e32 v36, v38, v36
	v_fma_f32 v38, v100, s13, -v181
	v_fmac_f32_e32 v182, 0xbf7ee86f, v85
	v_add_f32_e32 v125, v126, v125
	v_mov_b32_e32 v126, v218
	v_add_f32_e32 v36, v38, v36
	v_add_f32_e32 v38, v62, v182
	v_fmac_f32_e32 v183, 0xbe3c28d5, v86
	v_fmac_f32_e32 v126, 0xbf06c442, v89
	v_mul_f32_e32 v219, 0xbe8c1d8e, v131
	v_add_f32_e32 v38, v183, v38
	v_fmac_f32_e32 v184, 0x3f763a35, v87
	v_add_f32_e32 v125, v126, v125
	v_mov_b32_e32 v126, v219
	v_add_f32_e32 v38, v184, v38
	v_fmac_f32_e32 v185, 0x3eb8f4ab, v88
	v_fmac_f32_e32 v126, 0xbf763a35, v90
	v_mul_f32_e32 v220, 0x3ee437d1, v132
	v_add_f32_e32 v38, v185, v38
	v_fmac_f32_e32 v186, 0xbf65296c, v89
	v_add_f32_e32 v125, v126, v125
	v_mov_b32_e32 v126, v220
	;; [unrolled: 8-line block ×3, first 2 shown]
	v_add_f32_e32 v38, v188, v38
	v_fmac_f32_e32 v189, 0x3f2c7751, v92
	v_fmac_f32_e32 v126, 0xbeb8f4ab, v92
	v_mul_f32_e32 v222, 0xbf2c7751, v134
	v_add_f32_e32 v39, v189, v38
	v_fma_f32 v38, v93, s17, -v190
	v_add_f32_e32 v126, v126, v125
	v_mov_b32_e32 v125, v222
	v_mul_f32_e32 v223, 0xbf7ee86f, v135
	v_add_f32_e32 v38, v61, v38
	v_fma_f32 v40, v94, s10, -v191
	v_fmac_f32_e32 v125, 0x3f3d2fb0, v93
	v_mov_b32_e32 v224, v223
	v_add_f32_e32 v38, v40, v38
	v_fma_f32 v40, v95, s16, -v192
	v_add_f32_e32 v125, v61, v125
	v_fmac_f32_e32 v224, 0x3dbcf732, v94
	v_add_f32_e32 v38, v40, v38
	v_fma_f32 v40, v96, s12, -v193
	v_add_f32_e32 v125, v224, v125
	v_mul_f32_e32 v224, 0xbf4c4adb, v136
	v_add_f32_e32 v38, v40, v38
	v_fma_f32 v40, v97, s15, -v194
	v_mov_b32_e32 v225, v224
	v_add_f32_e32 v38, v40, v38
	v_fma_f32 v40, v98, s11, -v195
	v_fmac_f32_e32 v225, 0xbf1a4643, v95
	v_add_f32_e32 v38, v40, v38
	v_fma_f32 v40, v99, s13, -v196
	v_add_f32_e32 v125, v225, v125
	v_mul_f32_e32 v225, 0xbe3c28d5, v137
	v_add_f32_e32 v38, v40, v38
	v_fma_f32 v40, v100, s14, -v197
	v_fmac_f32_e32 v198, 0xbf65296c, v85
	v_mov_b32_e32 v226, v225
	v_add_f32_e32 v38, v40, v38
	v_add_f32_e32 v40, v62, v198
	v_fmac_f32_e32 v199, 0xbf4c4adb, v86
	v_fmac_f32_e32 v226, 0xbf7ba420, v96
	v_add_f32_e32 v40, v199, v40
	v_fmac_f32_e32 v200, 0x3e3c28d5, v87
	v_add_f32_e32 v125, v226, v125
	v_mul_f32_e32 v226, 0x3f06c442, v138
	v_add_f32_e32 v40, v200, v40
	v_fmac_f32_e32 v201, 0x3f763a35, v88
	v_mov_b32_e32 v227, v226
	v_add_f32_e32 v40, v201, v40
	v_fmac_f32_e32 v202, 0x3f2c7751, v89
	v_fmac_f32_e32 v227, 0xbf59a7d5, v97
	v_add_f32_e32 v40, v202, v40
	v_fmac_f32_e32 v203, 0xbeb8f4ab, v90
	v_add_f32_e32 v125, v227, v125
	v_mul_f32_e32 v227, 0x3f763a35, v139
	v_add_f32_e32 v40, v203, v40
	v_fmac_f32_e32 v204, 0xbf7ee86f, v91
	v_mov_b32_e32 v228, v227
	v_add_f32_e32 v40, v204, v40
	v_fmac_f32_e32 v205, 0xbf06c442, v92
	v_fmac_f32_e32 v228, 0xbe8c1d8e, v98
	v_add_f32_e32 v41, v205, v40
	v_fma_f32 v40, v93, s15, -v206
	v_add_f32_e32 v125, v228, v125
	v_mul_f32_e32 v228, 0x3f65296c, v140
	v_add_f32_e32 v40, v61, v40
	v_fma_f32 v42, v94, s13, -v207
	v_mov_b32_e32 v229, v228
	v_add_f32_e32 v40, v42, v40
	v_fma_f32 v42, v95, s10, -v208
	v_fmac_f32_e32 v229, 0x3ee437d1, v99
	v_add_f32_e32 v40, v42, v40
	v_fma_f32 v42, v96, s16, -v209
	v_add_f32_e32 v125, v229, v125
	v_mul_f32_e32 v229, 0x3eb8f4ab, v141
	v_add_f32_e32 v40, v42, v40
	v_fma_f32 v42, v97, s14, -v210
	v_mov_b32_e32 v230, v229
	v_add_f32_e32 v40, v42, v40
	v_fma_f32 v42, v98, s12, -v211
	v_fmac_f32_e32 v230, 0x3f6eb680, v100
	v_mul_f32_e32 v78, 0x3f6eb680, v78
	v_add_f32_e32 v40, v42, v40
	v_fma_f32 v42, v99, s17, -v212
	v_add_f32_e32 v125, v230, v125
	v_mov_b32_e32 v230, v78
	v_mul_f32_e32 v231, 0x3f3d2fb0, v127
	v_add_f32_e32 v40, v42, v40
	v_fma_f32 v42, v100, s11, -v213
	v_fmac_f32_e32 v214, 0xbf2c7751, v85
	v_fmac_f32_e32 v230, 0x3eb8f4ab, v85
	v_mov_b32_e32 v127, v231
	v_add_f32_e32 v40, v42, v40
	v_add_f32_e32 v42, v62, v214
	v_fmac_f32_e32 v215, 0xbf7ee86f, v86
	v_add_f32_e32 v230, v62, v230
	v_fmac_f32_e32 v127, 0x3f2c7751, v86
	;; [unrolled: 2-line block ×3, first 2 shown]
	v_add_f32_e32 v127, v127, v230
	v_mul_f32_e32 v230, 0x3ee437d1, v128
	v_add_f32_e32 v42, v216, v42
	v_fmac_f32_e32 v217, 0xbe3c28d5, v88
	v_mov_b32_e32 v128, v230
	v_add_f32_e32 v42, v217, v42
	v_fmac_f32_e32 v218, 0x3f06c442, v89
	v_fmac_f32_e32 v128, 0x3f65296c, v87
	v_mul_f32_e32 v129, 0x3dbcf732, v129
	v_add_f32_e32 v42, v218, v42
	v_fmac_f32_e32 v219, 0x3f763a35, v90
	v_add_f32_e32 v127, v128, v127
	v_mov_b32_e32 v128, v129
	v_add_f32_e32 v42, v219, v42
	v_fmac_f32_e32 v220, 0x3f65296c, v91
	v_fmac_f32_e32 v128, 0x3f7ee86f, v88
	v_mul_f32_e32 v130, 0xbe8c1d8e, v130
	v_add_f32_e32 v42, v220, v42
	v_fmac_f32_e32 v221, 0x3eb8f4ab, v92
	v_add_f32_e32 v127, v128, v127
	v_mov_b32_e32 v128, v130
	v_add_f32_e32 v43, v221, v42
	v_fma_f32 v42, v93, s14, -v222
	v_fmac_f32_e32 v128, 0x3f763a35, v89
	v_mul_f32_e32 v131, 0xbf1a4643, v131
	v_add_f32_e32 v42, v61, v42
	v_fma_f32 v44, v94, s17, -v223
	v_add_f32_e32 v127, v128, v127
	v_mov_b32_e32 v128, v131
	v_add_f32_e32 v42, v44, v42
	v_fma_f32 v44, v95, s13, -v224
	v_fmac_f32_e32 v128, 0x3f4c4adb, v90
	v_mul_f32_e32 v132, 0xbf59a7d5, v132
	v_add_f32_e32 v42, v44, v42
	v_fma_f32 v44, v96, s10, -v225
	;; [unrolled: 8-line block ×4, first 2 shown]
	v_fmac_f32_e32 v78, 0xbeb8f4ab, v85
	v_add_f32_e32 v128, v128, v127
	v_mov_b32_e32 v127, v134
	v_mul_f32_e32 v135, 0xbf2c7751, v135
	v_add_f32_e32 v42, v44, v42
	v_add_f32_e32 v44, v62, v78
	v_fmac_f32_e32 v231, 0xbf2c7751, v86
	v_fmac_f32_e32 v127, 0x3f6eb680, v93
	v_mov_b32_e32 v232, v135
	v_add_f32_e32 v44, v231, v44
	v_fmac_f32_e32 v230, 0xbf65296c, v87
	v_add_f32_e32 v127, v61, v127
	v_fmac_f32_e32 v232, 0x3f3d2fb0, v94
	v_mul_f32_e32 v136, 0xbf65296c, v136
	v_add_f32_e32 v44, v230, v44
	v_fmac_f32_e32 v129, 0xbf7ee86f, v88
	v_add_f32_e32 v127, v232, v127
	v_mov_b32_e32 v232, v136
	v_add_f32_e32 v44, v129, v44
	v_fmac_f32_e32 v130, 0xbf763a35, v89
	v_fmac_f32_e32 v232, 0x3ee437d1, v95
	v_mul_f32_e32 v137, 0xbf7ee86f, v137
	v_add_f32_e32 v44, v130, v44
	v_fmac_f32_e32 v131, 0xbf4c4adb, v90
	v_add_f32_e32 v127, v232, v127
	v_mov_b32_e32 v232, v137
	v_add_f32_e32 v44, v131, v44
	v_fmac_f32_e32 v132, 0xbf06c442, v91
	v_fmac_f32_e32 v232, 0x3dbcf732, v96
	v_mul_f32_e32 v138, 0xbf763a35, v138
	v_add_f32_e32 v44, v132, v44
	v_fmac_f32_e32 v133, 0xbe3c28d5, v92
	v_add_f32_e32 v127, v232, v127
	v_mov_b32_e32 v232, v138
	v_add_f32_e32 v45, v133, v44
	v_fma_f32 v44, v93, s12, -v134
	v_fmac_f32_e32 v232, 0xbe8c1d8e, v97
	v_mul_f32_e32 v139, 0xbf4c4adb, v139
	v_add_f32_e32 v44, v61, v44
	v_fma_f32 v46, v94, s14, -v135
	v_add_f32_e32 v127, v232, v127
	v_mov_b32_e32 v232, v139
	v_add_f32_e32 v44, v46, v44
	v_fma_f32 v46, v95, s15, -v136
	v_fmac_f32_e32 v232, 0xbf1a4643, v98
	v_mul_f32_e32 v140, 0xbf06c442, v140
	v_add_f32_e32 v44, v46, v44
	v_fma_f32 v46, v96, s17, -v137
	;; [unrolled: 8-line block ×3, first 2 shown]
	v_add_f32_e32 v127, v232, v127
	v_mov_b32_e32 v232, v141
	v_add_f32_e32 v44, v46, v44
	v_fma_f32 v46, v99, s11, -v140
	v_fmac_f32_e32 v232, 0xbf7ba420, v100
	v_add_f32_e32 v44, v46, v44
	v_fma_f32 v46, v100, s10, -v141
	v_add_f32_e32 v127, v232, v127
	v_add_f32_e32 v44, v46, v44
	v_lshl_add_u32 v46, v233, 3, v77
	ds_write2_b64 v46, v[0:1], v[127:128] offset1:1
	ds_write2_b64 v46, v[125:126], v[73:74] offset0:2 offset1:3
	ds_write2_b64 v46, v[71:72], v[69:70] offset0:4 offset1:5
	;; [unrolled: 1-line block ×7, first 2 shown]
	ds_write_b64 v46, v[44:45] offset:128
.LBB0_13:
	s_or_b64 exec, exec, s[4:5]
	s_waitcnt lgkmcnt(0)
	s_barrier
	ds_read2_b64 v[0:3], v80 offset1:51
	ds_read2_b64 v[32:35], v80 offset0:102 offset1:153
	v_add_u32_e32 v46, 0x800, v80
	ds_read2_b64 v[36:39], v46 offset0:50 offset1:101
	ds_read2_b64 v[40:43], v80 offset0:204 offset1:255
	ds_read_b64 v[44:45], v80 offset:3264
	s_waitcnt lgkmcnt(0)
	s_barrier
	v_mul_f32_e32 v47, v13, v35
	v_mul_f32_e32 v13, v13, v34
	v_fmac_f32_e32 v47, v12, v34
	v_fma_f32 v12, v12, v35, -v13
	v_mul_f32_e32 v13, v15, v37
	v_mul_f32_e32 v15, v15, v36
	v_fmac_f32_e32 v13, v14, v36
	v_fma_f32 v14, v14, v37, -v15
	v_mul_f32_e32 v15, v9, v41
	v_mul_f32_e32 v9, v9, v40
	;; [unrolled: 1-line block ×4, first 2 shown]
	v_fmac_f32_e32 v15, v8, v40
	v_fma_f32 v34, v8, v41, -v9
	v_mul_f32_e32 v35, v11, v39
	v_mul_f32_e32 v8, v11, v38
	v_fmac_f32_e32 v36, v4, v42
	v_fma_f32 v37, v4, v43, -v5
	v_mul_f32_e32 v4, v7, v44
	v_add_f32_e32 v5, v47, v13
	v_fmac_f32_e32 v35, v10, v38
	v_fma_f32 v11, v10, v39, -v8
	v_mul_f32_e32 v38, v7, v45
	v_fma_f32 v39, v6, v45, -v4
	v_add_f32_e32 v4, v0, v47
	v_fma_f32 v0, -0.5, v5, v0
	v_fmac_f32_e32 v38, v6, v44
	v_sub_f32_e32 v5, v12, v14
	v_mov_b32_e32 v6, v0
	v_add_f32_e32 v7, v12, v14
	v_fmac_f32_e32 v6, 0xbf5db3d7, v5
	v_fmac_f32_e32 v0, 0x3f5db3d7, v5
	v_add_f32_e32 v5, v1, v12
	v_fma_f32 v1, -0.5, v7, v1
	v_sub_f32_e32 v8, v47, v13
	v_mov_b32_e32 v7, v1
	v_add_f32_e32 v9, v15, v35
	v_fmac_f32_e32 v7, 0x3f5db3d7, v8
	v_fmac_f32_e32 v1, 0xbf5db3d7, v8
	v_add_f32_e32 v8, v2, v15
	v_fma_f32 v2, -0.5, v9, v2
	v_sub_f32_e32 v9, v34, v11
	v_mov_b32_e32 v10, v2
	v_fmac_f32_e32 v10, 0xbf5db3d7, v9
	v_fmac_f32_e32 v2, 0x3f5db3d7, v9
	v_add_f32_e32 v9, v3, v34
	v_add_f32_e32 v9, v9, v11
	;; [unrolled: 1-line block ×3, first 2 shown]
	v_fmac_f32_e32 v3, -0.5, v11
	v_add_f32_e32 v4, v4, v13
	v_sub_f32_e32 v12, v15, v35
	v_mov_b32_e32 v11, v3
	v_add_f32_e32 v13, v36, v38
	v_fmac_f32_e32 v11, 0x3f5db3d7, v12
	v_fmac_f32_e32 v3, 0xbf5db3d7, v12
	v_add_f32_e32 v12, v32, v36
	v_fma_f32 v32, -0.5, v13, v32
	v_add_f32_e32 v5, v5, v14
	v_sub_f32_e32 v13, v37, v39
	v_mov_b32_e32 v14, v32
	v_add_f32_e32 v15, v37, v39
	v_fmac_f32_e32 v14, 0xbf5db3d7, v13
	v_fmac_f32_e32 v32, 0x3f5db3d7, v13
	v_add_f32_e32 v13, v33, v37
	v_fmac_f32_e32 v33, -0.5, v15
	v_sub_f32_e32 v34, v36, v38
	v_mov_b32_e32 v15, v33
	v_add_f32_e32 v8, v8, v35
	v_add_f32_e32 v12, v12, v38
	;; [unrolled: 1-line block ×3, first 2 shown]
	v_fmac_f32_e32 v15, 0x3f5db3d7, v34
	v_fmac_f32_e32 v33, 0xbf5db3d7, v34
	ds_write2_b64 v82, v[4:5], v[6:7] offset1:17
	ds_write_b64 v82, v[0:1] offset:272
	ds_write2_b64 v83, v[8:9], v[10:11] offset1:17
	ds_write_b64 v83, v[2:3] offset:272
	;; [unrolled: 2-line block ×3, first 2 shown]
	s_waitcnt lgkmcnt(0)
	s_barrier
	ds_read2_b64 v[0:3], v80 offset1:51
	ds_read2_b64 v[4:7], v80 offset0:102 offset1:153
	ds_read2_b64 v[8:11], v80 offset0:204 offset1:255
	;; [unrolled: 1-line block ×3, first 2 shown]
	ds_read_b64 v[32:33], v80 offset:3264
	s_waitcnt lgkmcnt(4)
	v_mul_f32_e32 v34, v29, v3
	v_fmac_f32_e32 v34, v28, v2
	v_mul_f32_e32 v2, v29, v2
	v_fma_f32 v2, v28, v3, -v2
	s_waitcnt lgkmcnt(3)
	v_mul_f32_e32 v3, v31, v5
	v_fmac_f32_e32 v3, v30, v4
	v_mul_f32_e32 v4, v31, v4
	v_fma_f32 v4, v30, v5, -v4
	v_mul_f32_e32 v5, v25, v7
	v_fmac_f32_e32 v5, v24, v6
	v_mul_f32_e32 v6, v25, v6
	v_fma_f32 v6, v24, v7, -v6
	s_waitcnt lgkmcnt(2)
	v_mul_f32_e32 v24, v27, v9
	v_mul_f32_e32 v7, v27, v8
	v_fmac_f32_e32 v24, v26, v8
	v_fma_f32 v25, v26, v9, -v7
	v_mul_f32_e32 v26, v21, v11
	v_mul_f32_e32 v7, v21, v10
	v_fmac_f32_e32 v26, v20, v10
	v_fma_f32 v20, v20, v11, -v7
	s_waitcnt lgkmcnt(1)
	v_mul_f32_e32 v7, v23, v13
	v_fmac_f32_e32 v7, v22, v12
	v_mul_f32_e32 v8, v23, v12
	s_waitcnt lgkmcnt(0)
	v_mul_f32_e32 v11, v19, v33
	v_mul_f32_e32 v12, v19, v32
	v_mul_f32_e32 v9, v17, v15
	v_mul_f32_e32 v10, v17, v14
	v_fmac_f32_e32 v11, v18, v32
	v_fma_f32 v12, v18, v33, -v12
	v_fmac_f32_e32 v9, v16, v14
	v_fma_f32 v10, v16, v15, -v10
	v_sub_f32_e32 v14, v34, v11
	v_sub_f32_e32 v15, v2, v12
	v_fma_f32 v8, v22, v13, -v8
	v_add_f32_e32 v19, v4, v10
	v_add_f32_e32 v21, v5, v7
	v_sub_f32_e32 v23, v3, v9
	v_sub_f32_e32 v27, v4, v10
	;; [unrolled: 1-line block ×3, first 2 shown]
	v_mul_f32_e32 v5, 0x3f248dbb, v14
	v_mul_f32_e32 v4, 0x3f248dbb, v15
	v_sub_f32_e32 v30, v24, v26
	v_sub_f32_e32 v31, v25, v20
	v_add_f32_e32 v18, v3, v9
	v_add_f32_e32 v22, v6, v8
	v_sub_f32_e32 v29, v6, v8
	v_fmac_f32_e32 v5, 0x3f7c1c5c, v23
	v_fmac_f32_e32 v4, 0x3f7c1c5c, v27
	v_mul_f32_e32 v9, 0xbf248dbb, v30
	v_mul_f32_e32 v8, 0xbf248dbb, v31
	v_fmac_f32_e32 v5, 0x3f5db3d7, v28
	v_fmac_f32_e32 v4, 0x3f5db3d7, v29
	;; [unrolled: 1-line block ×4, first 2 shown]
	v_add_f32_e32 v16, v34, v11
	v_fmac_f32_e32 v5, 0x3eaf1d44, v30
	v_fmac_f32_e32 v4, 0x3eaf1d44, v31
	s_mov_b32 s4, 0xbf248dbb
	v_fmac_f32_e32 v9, 0xbf5db3d7, v28
	v_fmac_f32_e32 v8, 0xbf5db3d7, v29
	v_add_f32_e32 v10, v30, v14
	v_add_f32_e32 v11, v31, v15
	v_mul_f32_e32 v30, 0x3f7c1c5c, v30
	v_mul_f32_e32 v31, 0x3f7c1c5c, v31
	v_add_f32_e32 v17, v2, v12
	v_fmac_f32_e32 v9, 0x3eaf1d44, v23
	v_fmac_f32_e32 v8, 0x3eaf1d44, v27
	v_sub_f32_e32 v12, v10, v23
	v_sub_f32_e32 v13, v11, v27
	v_fma_f32 v23, v23, s4, -v30
	v_fma_f32 v27, v27, s4, -v31
	v_add_f32_e32 v36, v18, v16
	v_add_f32_e32 v37, v19, v17
	v_fmac_f32_e32 v23, 0x3f5db3d7, v28
	v_fmac_f32_e32 v27, 0x3f5db3d7, v29
	;; [unrolled: 1-line block ×4, first 2 shown]
	v_add_f32_e32 v14, v21, v36
	v_add_f32_e32 v15, v22, v37
	v_add_f32_e32 v14, v24, v14
	v_add_f32_e32 v15, v25, v15
	v_mov_b32_e32 v2, v0
	v_mov_b32_e32 v3, v1
	v_add_f32_e32 v14, v26, v14
	v_add_f32_e32 v15, v20, v15
	v_fmac_f32_e32 v2, 0x3f441b7d, v16
	v_fmac_f32_e32 v3, 0x3f441b7d, v17
	v_add_f32_e32 v32, v24, v26
	v_add_f32_e32 v33, v25, v20
	v_mov_b32_e32 v6, v0
	v_mov_b32_e32 v7, v1
	v_add_f32_e32 v10, v21, v0
	v_add_f32_e32 v11, v22, v1
	;; [unrolled: 1-line block ×4, first 2 shown]
	v_fmac_f32_e32 v0, 0x3f441b7d, v18
	v_fmac_f32_e32 v1, 0x3f441b7d, v19
	;; [unrolled: 1-line block ×8, first 2 shown]
	v_fmac_f32_e32 v2, -0.5, v21
	v_fmac_f32_e32 v3, -0.5, v22
	v_fmac_f32_e32 v6, 0x3e31d0d4, v16
	v_fmac_f32_e32 v7, 0x3e31d0d4, v17
	v_fmac_f32_e32 v0, -0.5, v21
	v_fmac_f32_e32 v1, -0.5, v22
	v_fmac_f32_e32 v2, 0xbf708fb2, v32
	v_fmac_f32_e32 v3, 0xbf708fb2, v33
	v_fmac_f32_e32 v6, -0.5, v21
	v_fmac_f32_e32 v7, -0.5, v22
	v_add_f32_e32 v38, v32, v36
	v_add_f32_e32 v39, v33, v37
	v_fmac_f32_e32 v0, 0xbf708fb2, v16
	v_fmac_f32_e32 v1, 0xbf708fb2, v17
	v_sub_f32_e32 v2, v2, v4
	v_add_f32_e32 v3, v5, v3
	v_fmac_f32_e32 v6, 0xbf708fb2, v18
	v_fmac_f32_e32 v7, 0xbf708fb2, v19
	v_fmac_f32_e32 v10, -0.5, v38
	v_fmac_f32_e32 v11, -0.5, v39
	v_sub_f32_e32 v0, v0, v27
	v_add_f32_e32 v1, v23, v1
	v_fma_f32 v4, 2.0, v4, v2
	v_fma_f32 v5, -2.0, v5, v3
	v_sub_f32_e32 v6, v6, v8
	v_add_f32_e32 v7, v9, v7
	v_mul_f32_e32 v34, 0x3f5db3d7, v12
	v_mul_f32_e32 v35, 0x3f5db3d7, v13
	v_fmac_f32_e32 v10, 0xbf5db3d7, v13
	v_fmac_f32_e32 v11, 0x3f5db3d7, v12
	ds_write_b64 v81, v[14:15]
	ds_write2_b64 v79, v[2:3], v[6:7] offset0:51 offset1:102
	v_mov_b32_e32 v3, v1
	v_mov_b32_e32 v2, v0
	v_fma_f32 v8, 2.0, v8, v6
	v_fma_f32 v9, -2.0, v9, v7
	v_fma_f32 v12, 2.0, v35, v10
	v_fma_f32 v13, -2.0, v34, v11
	v_fmac_f32_e32 v3, -2.0, v23
	v_fmac_f32_e32 v2, 2.0, v27
	ds_write2_b64 v79, v[10:11], v[0:1] offset0:153 offset1:204
	v_add_u32_e32 v1, 0x400, v79
	v_add_u32_e32 v0, 0x800, v79
	ds_write2_b64 v1, v[2:3], v[12:13] offset0:127 offset1:178
	ds_write2_b64 v0, v[8:9], v[4:5] offset0:101 offset1:152
	s_waitcnt lgkmcnt(0)
	s_barrier
	s_and_b64 exec, exec, vcc
	s_cbranch_execz .LBB0_15
; %bb.14:
	global_load_dwordx2 v[2:3], v75, s[6:7]
	ds_read_b64 v[6:7], v81
	v_mad_u64_u32 v[4:5], s[4:5], s2, v48, 0
	v_mad_u64_u32 v[8:9], s[4:5], s0, v76, 0
	s_waitcnt lgkmcnt(0)
	v_mad_u64_u32 v[10:11], s[2:3], s3, v48, v[5:6]
	s_mov_b32 s4, 0x672e4abd
	s_mov_b32 s5, 0x3f61d8f5
	v_mad_u64_u32 v[11:12], s[2:3], s1, v76, v[9:10]
	v_mov_b32_e32 v13, s9
	s_mulk_i32 s1, 0xd8
	v_mov_b32_e32 v9, v11
	v_lshlrev_b64 v[8:9], 3, v[8:9]
	s_mul_hi_u32 s2, s0, 0xd8
	s_mulk_i32 s0, 0xd8
	s_add_i32 s1, s2, s1
	s_waitcnt vmcnt(0)
	v_mul_f32_e32 v5, v7, v3
	v_mul_f32_e32 v3, v6, v3
	v_fmac_f32_e32 v5, v6, v2
	v_fma_f32 v6, v2, v7, -v3
	v_cvt_f64_f32_e32 v[2:3], v5
	v_cvt_f64_f32_e32 v[6:7], v6
	v_mov_b32_e32 v5, v10
	v_lshlrev_b64 v[4:5], 3, v[4:5]
	v_mul_f64 v[2:3], v[2:3], s[4:5]
	v_mul_f64 v[6:7], v[6:7], s[4:5]
	v_add_co_u32_e32 v4, vcc, s8, v4
	v_addc_co_u32_e32 v5, vcc, v13, v5, vcc
	v_cvt_f32_f64_e32 v2, v[2:3]
	v_cvt_f32_f64_e32 v3, v[6:7]
	v_add_co_u32_e32 v6, vcc, v4, v8
	v_addc_co_u32_e32 v7, vcc, v5, v9, vcc
	global_store_dwordx2 v[6:7], v[2:3], off
	global_load_dwordx2 v[8:9], v75, s[6:7] offset:216
	ds_read2_b64 v[2:5], v79 offset0:27 offset1:54
	v_add_co_u32_e32 v6, vcc, s0, v6
	s_waitcnt vmcnt(0) lgkmcnt(0)
	v_mul_f32_e32 v10, v3, v9
	v_mul_f32_e32 v9, v2, v9
	v_fmac_f32_e32 v10, v2, v8
	v_fma_f32 v8, v8, v3, -v9
	v_cvt_f64_f32_e32 v[2:3], v10
	v_cvt_f64_f32_e32 v[8:9], v8
	v_mov_b32_e32 v10, s1
	v_addc_co_u32_e32 v7, vcc, v7, v10, vcc
	v_mul_f64 v[2:3], v[2:3], s[4:5]
	v_mul_f64 v[8:9], v[8:9], s[4:5]
	v_cvt_f32_f64_e32 v2, v[2:3]
	v_cvt_f32_f64_e32 v3, v[8:9]
	global_store_dwordx2 v[6:7], v[2:3], off
	global_load_dwordx2 v[2:3], v75, s[6:7] offset:432
	v_add_co_u32_e32 v6, vcc, s0, v6
	s_waitcnt vmcnt(0)
	v_mul_f32_e32 v8, v5, v3
	v_mul_f32_e32 v3, v4, v3
	v_fmac_f32_e32 v8, v4, v2
	v_fma_f32 v4, v2, v5, -v3
	v_cvt_f64_f32_e32 v[2:3], v8
	v_cvt_f64_f32_e32 v[4:5], v4
	v_mov_b32_e32 v8, s1
	v_addc_co_u32_e32 v7, vcc, v7, v8, vcc
	v_mul_f64 v[2:3], v[2:3], s[4:5]
	v_mul_f64 v[4:5], v[4:5], s[4:5]
	v_cvt_f32_f64_e32 v2, v[2:3]
	v_cvt_f32_f64_e32 v3, v[4:5]
	global_store_dwordx2 v[6:7], v[2:3], off
	global_load_dwordx2 v[8:9], v75, s[6:7] offset:648
	ds_read2_b64 v[2:5], v79 offset0:81 offset1:108
	v_add_co_u32_e32 v6, vcc, s0, v6
	s_waitcnt vmcnt(0) lgkmcnt(0)
	v_mul_f32_e32 v10, v3, v9
	v_mul_f32_e32 v9, v2, v9
	v_fmac_f32_e32 v10, v2, v8
	v_fma_f32 v8, v8, v3, -v9
	v_cvt_f64_f32_e32 v[2:3], v10
	v_cvt_f64_f32_e32 v[8:9], v8
	v_mov_b32_e32 v10, s1
	v_addc_co_u32_e32 v7, vcc, v7, v10, vcc
	v_mul_f64 v[2:3], v[2:3], s[4:5]
	v_mul_f64 v[8:9], v[8:9], s[4:5]
	v_cvt_f32_f64_e32 v2, v[2:3]
	v_cvt_f32_f64_e32 v3, v[8:9]
	global_store_dwordx2 v[6:7], v[2:3], off
	global_load_dwordx2 v[2:3], v75, s[6:7] offset:864
	v_add_co_u32_e32 v6, vcc, s0, v6
	s_waitcnt vmcnt(0)
	v_mul_f32_e32 v8, v5, v3
	v_mul_f32_e32 v3, v4, v3
	v_fmac_f32_e32 v8, v4, v2
	v_fma_f32 v4, v2, v5, -v3
	v_cvt_f64_f32_e32 v[2:3], v8
	v_cvt_f64_f32_e32 v[4:5], v4
	v_mov_b32_e32 v8, s1
	v_addc_co_u32_e32 v7, vcc, v7, v8, vcc
	v_mul_f64 v[2:3], v[2:3], s[4:5]
	v_mul_f64 v[4:5], v[4:5], s[4:5]
	v_cvt_f32_f64_e32 v2, v[2:3]
	v_cvt_f32_f64_e32 v3, v[4:5]
	;; [unrolled: 33-line block ×3, first 2 shown]
	global_store_dwordx2 v[6:7], v[2:3], off
	global_load_dwordx2 v[8:9], v75, s[6:7] offset:1512
	ds_read2_b64 v[2:5], v79 offset0:189 offset1:216
	v_add_co_u32_e32 v6, vcc, s0, v6
	s_waitcnt vmcnt(0) lgkmcnt(0)
	v_mul_f32_e32 v10, v3, v9
	v_mul_f32_e32 v9, v2, v9
	v_fmac_f32_e32 v10, v2, v8
	v_fma_f32 v8, v8, v3, -v9
	v_cvt_f64_f32_e32 v[2:3], v10
	v_cvt_f64_f32_e32 v[8:9], v8
	v_mov_b32_e32 v10, s1
	v_addc_co_u32_e32 v7, vcc, v7, v10, vcc
	v_mul_f64 v[2:3], v[2:3], s[4:5]
	v_mul_f64 v[8:9], v[8:9], s[4:5]
	v_cvt_f32_f64_e32 v2, v[2:3]
	v_cvt_f32_f64_e32 v3, v[8:9]
	global_store_dwordx2 v[6:7], v[2:3], off
	global_load_dwordx2 v[2:3], v75, s[6:7] offset:1728
	s_waitcnt vmcnt(0)
	v_mul_f32_e32 v8, v5, v3
	v_mul_f32_e32 v3, v4, v3
	v_fmac_f32_e32 v8, v4, v2
	v_fma_f32 v4, v2, v5, -v3
	v_cvt_f64_f32_e32 v[2:3], v8
	v_cvt_f64_f32_e32 v[4:5], v4
	v_mov_b32_e32 v8, s1
	v_mul_f64 v[2:3], v[2:3], s[4:5]
	v_mul_f64 v[4:5], v[4:5], s[4:5]
	v_cvt_f32_f64_e32 v2, v[2:3]
	v_cvt_f32_f64_e32 v3, v[4:5]
	v_add_co_u32_e32 v5, vcc, s0, v6
	v_addc_co_u32_e32 v6, vcc, v7, v8, vcc
	global_store_dwordx2 v[5:6], v[2:3], off
	global_load_dwordx2 v[7:8], v75, s[6:7] offset:1944
	ds_read2_b64 v[1:4], v1 offset0:115 offset1:142
	v_add_co_u32_e32 v5, vcc, s0, v5
	s_waitcnt vmcnt(0) lgkmcnt(0)
	v_mul_f32_e32 v9, v2, v8
	v_mul_f32_e32 v8, v1, v8
	v_fmac_f32_e32 v9, v1, v7
	v_fma_f32 v7, v7, v2, -v8
	v_cvt_f64_f32_e32 v[1:2], v9
	v_cvt_f64_f32_e32 v[7:8], v7
	v_mov_b32_e32 v9, s1
	v_addc_co_u32_e32 v6, vcc, v6, v9, vcc
	v_mul_f64 v[1:2], v[1:2], s[4:5]
	v_mul_f64 v[7:8], v[7:8], s[4:5]
	v_cvt_f32_f64_e32 v1, v[1:2]
	v_cvt_f32_f64_e32 v2, v[7:8]
	global_store_dwordx2 v[5:6], v[1:2], off
	global_load_dwordx2 v[1:2], v75, s[6:7] offset:2160
	v_add_co_u32_e32 v5, vcc, s0, v5
	s_waitcnt vmcnt(0)
	v_mul_f32_e32 v7, v4, v2
	v_mul_f32_e32 v2, v3, v2
	v_fmac_f32_e32 v7, v3, v1
	v_fma_f32 v3, v1, v4, -v2
	v_cvt_f64_f32_e32 v[1:2], v7
	v_cvt_f64_f32_e32 v[3:4], v3
	v_mov_b32_e32 v7, s1
	v_addc_co_u32_e32 v6, vcc, v6, v7, vcc
	v_mul_f64 v[1:2], v[1:2], s[4:5]
	v_mul_f64 v[3:4], v[3:4], s[4:5]
	v_cvt_f32_f64_e32 v1, v[1:2]
	v_cvt_f32_f64_e32 v2, v[3:4]
	global_store_dwordx2 v[5:6], v[1:2], off
	global_load_dwordx2 v[7:8], v75, s[6:7] offset:2376
	ds_read2_b64 v[1:4], v0 offset0:41 offset1:68
	v_add_co_u32_e32 v5, vcc, s0, v5
	s_waitcnt vmcnt(0) lgkmcnt(0)
	v_mul_f32_e32 v9, v2, v8
	v_mul_f32_e32 v8, v1, v8
	v_fmac_f32_e32 v9, v1, v7
	v_fma_f32 v7, v7, v2, -v8
	v_cvt_f64_f32_e32 v[1:2], v9
	v_cvt_f64_f32_e32 v[7:8], v7
	v_mov_b32_e32 v9, s1
	v_addc_co_u32_e32 v6, vcc, v6, v9, vcc
	v_mul_f64 v[1:2], v[1:2], s[4:5]
	v_mul_f64 v[7:8], v[7:8], s[4:5]
	v_cvt_f32_f64_e32 v1, v[1:2]
	v_cvt_f32_f64_e32 v2, v[7:8]
	global_store_dwordx2 v[5:6], v[1:2], off
	global_load_dwordx2 v[1:2], v75, s[6:7] offset:2592
	v_add_co_u32_e32 v5, vcc, s0, v5
	s_waitcnt vmcnt(0)
	v_mul_f32_e32 v7, v4, v2
	v_mul_f32_e32 v2, v3, v2
	v_fmac_f32_e32 v7, v3, v1
	v_fma_f32 v3, v1, v4, -v2
	v_cvt_f64_f32_e32 v[1:2], v7
	v_cvt_f64_f32_e32 v[3:4], v3
	v_mov_b32_e32 v7, s1
	v_addc_co_u32_e32 v6, vcc, v6, v7, vcc
	v_mul_f64 v[1:2], v[1:2], s[4:5]
	v_mul_f64 v[3:4], v[3:4], s[4:5]
	v_cvt_f32_f64_e32 v1, v[1:2]
	v_cvt_f32_f64_e32 v2, v[3:4]
	global_store_dwordx2 v[5:6], v[1:2], off
	global_load_dwordx2 v[7:8], v75, s[6:7] offset:2808
	ds_read2_b64 v[1:4], v0 offset0:95 offset1:122
	v_add_co_u32_e32 v5, vcc, s0, v5
	s_waitcnt vmcnt(0) lgkmcnt(0)
	v_mul_f32_e32 v9, v2, v8
	v_mul_f32_e32 v8, v1, v8
	v_fmac_f32_e32 v9, v1, v7
	v_fma_f32 v7, v7, v2, -v8
	v_cvt_f64_f32_e32 v[1:2], v9
	v_cvt_f64_f32_e32 v[7:8], v7
	v_mov_b32_e32 v9, s1
	v_addc_co_u32_e32 v6, vcc, v6, v9, vcc
	v_mul_f64 v[1:2], v[1:2], s[4:5]
	v_mul_f64 v[7:8], v[7:8], s[4:5]
	v_cvt_f32_f64_e32 v1, v[1:2]
	v_cvt_f32_f64_e32 v2, v[7:8]
	global_store_dwordx2 v[5:6], v[1:2], off
	global_load_dwordx2 v[1:2], v75, s[6:7] offset:3024
	s_waitcnt vmcnt(0)
	v_mul_f32_e32 v7, v4, v2
	v_mul_f32_e32 v2, v3, v2
	v_fmac_f32_e32 v7, v3, v1
	v_fma_f32 v3, v1, v4, -v2
	v_cvt_f64_f32_e32 v[1:2], v7
	v_cvt_f64_f32_e32 v[3:4], v3
	v_mov_b32_e32 v7, s1
	v_mul_f64 v[1:2], v[1:2], s[4:5]
	v_mul_f64 v[3:4], v[3:4], s[4:5]
	v_cvt_f32_f64_e32 v1, v[1:2]
	v_cvt_f32_f64_e32 v2, v[3:4]
	v_add_co_u32_e32 v4, vcc, s0, v5
	v_addc_co_u32_e32 v5, vcc, v6, v7, vcc
	global_store_dwordx2 v[4:5], v[1:2], off
	global_load_dwordx2 v[6:7], v75, s[6:7] offset:3240
	ds_read2_b64 v[0:3], v0 offset0:149 offset1:176
	v_add_co_u32_e32 v4, vcc, s0, v4
	s_waitcnt vmcnt(0) lgkmcnt(0)
	v_mul_f32_e32 v8, v1, v7
	v_mul_f32_e32 v7, v0, v7
	v_fmac_f32_e32 v8, v0, v6
	v_fma_f32 v6, v6, v1, -v7
	v_cvt_f64_f32_e32 v[0:1], v8
	v_cvt_f64_f32_e32 v[6:7], v6
	v_mov_b32_e32 v8, s1
	v_addc_co_u32_e32 v5, vcc, v5, v8, vcc
	v_mul_f64 v[0:1], v[0:1], s[4:5]
	v_mul_f64 v[6:7], v[6:7], s[4:5]
	v_cvt_f32_f64_e32 v0, v[0:1]
	v_cvt_f32_f64_e32 v1, v[6:7]
	global_store_dwordx2 v[4:5], v[0:1], off
	global_load_dwordx2 v[0:1], v75, s[6:7] offset:3456
	s_waitcnt vmcnt(0)
	v_mul_f32_e32 v6, v3, v1
	v_mul_f32_e32 v1, v2, v1
	v_fmac_f32_e32 v6, v2, v0
	v_fma_f32 v2, v0, v3, -v1
	v_cvt_f64_f32_e32 v[0:1], v6
	v_cvt_f64_f32_e32 v[2:3], v2
	v_mov_b32_e32 v6, s1
	v_mul_f64 v[0:1], v[0:1], s[4:5]
	v_mul_f64 v[2:3], v[2:3], s[4:5]
	v_cvt_f32_f64_e32 v0, v[0:1]
	v_cvt_f32_f64_e32 v1, v[2:3]
	v_add_co_u32_e32 v2, vcc, s0, v4
	v_addc_co_u32_e32 v3, vcc, v5, v6, vcc
	global_store_dwordx2 v[2:3], v[0:1], off
.LBB0_15:
	s_endpgm
	.section	.rodata,"a",@progbits
	.p2align	6, 0x0
	.amdhsa_kernel bluestein_single_fwd_len459_dim1_sp_op_CI_CI
		.amdhsa_group_segment_fixed_size 18360
		.amdhsa_private_segment_fixed_size 8
		.amdhsa_kernarg_size 104
		.amdhsa_user_sgpr_count 6
		.amdhsa_user_sgpr_private_segment_buffer 1
		.amdhsa_user_sgpr_dispatch_ptr 0
		.amdhsa_user_sgpr_queue_ptr 0
		.amdhsa_user_sgpr_kernarg_segment_ptr 1
		.amdhsa_user_sgpr_dispatch_id 0
		.amdhsa_user_sgpr_flat_scratch_init 0
		.amdhsa_user_sgpr_private_segment_size 0
		.amdhsa_uses_dynamic_stack 0
		.amdhsa_system_sgpr_private_segment_wavefront_offset 1
		.amdhsa_system_sgpr_workgroup_id_x 1
		.amdhsa_system_sgpr_workgroup_id_y 0
		.amdhsa_system_sgpr_workgroup_id_z 0
		.amdhsa_system_sgpr_workgroup_info 0
		.amdhsa_system_vgpr_workitem_id 0
		.amdhsa_next_free_vgpr 256
		.amdhsa_next_free_sgpr 24
		.amdhsa_reserve_vcc 1
		.amdhsa_reserve_flat_scratch 0
		.amdhsa_float_round_mode_32 0
		.amdhsa_float_round_mode_16_64 0
		.amdhsa_float_denorm_mode_32 3
		.amdhsa_float_denorm_mode_16_64 3
		.amdhsa_dx10_clamp 1
		.amdhsa_ieee_mode 1
		.amdhsa_fp16_overflow 0
		.amdhsa_exception_fp_ieee_invalid_op 0
		.amdhsa_exception_fp_denorm_src 0
		.amdhsa_exception_fp_ieee_div_zero 0
		.amdhsa_exception_fp_ieee_overflow 0
		.amdhsa_exception_fp_ieee_underflow 0
		.amdhsa_exception_fp_ieee_inexact 0
		.amdhsa_exception_int_div_zero 0
	.end_amdhsa_kernel
	.text
.Lfunc_end0:
	.size	bluestein_single_fwd_len459_dim1_sp_op_CI_CI, .Lfunc_end0-bluestein_single_fwd_len459_dim1_sp_op_CI_CI
                                        ; -- End function
	.section	.AMDGPU.csdata,"",@progbits
; Kernel info:
; codeLenInByte = 17456
; NumSgprs: 28
; NumVgprs: 256
; ScratchSize: 8
; MemoryBound: 0
; FloatMode: 240
; IeeeMode: 1
; LDSByteSize: 18360 bytes/workgroup (compile time only)
; SGPRBlocks: 3
; VGPRBlocks: 63
; NumSGPRsForWavesPerEU: 28
; NumVGPRsForWavesPerEU: 256
; Occupancy: 1
; WaveLimiterHint : 1
; COMPUTE_PGM_RSRC2:SCRATCH_EN: 1
; COMPUTE_PGM_RSRC2:USER_SGPR: 6
; COMPUTE_PGM_RSRC2:TRAP_HANDLER: 0
; COMPUTE_PGM_RSRC2:TGID_X_EN: 1
; COMPUTE_PGM_RSRC2:TGID_Y_EN: 0
; COMPUTE_PGM_RSRC2:TGID_Z_EN: 0
; COMPUTE_PGM_RSRC2:TIDIG_COMP_CNT: 0
	.type	__hip_cuid_5dca77fa515d887a,@object ; @__hip_cuid_5dca77fa515d887a
	.section	.bss,"aw",@nobits
	.globl	__hip_cuid_5dca77fa515d887a
__hip_cuid_5dca77fa515d887a:
	.byte	0                               ; 0x0
	.size	__hip_cuid_5dca77fa515d887a, 1

	.ident	"AMD clang version 19.0.0git (https://github.com/RadeonOpenCompute/llvm-project roc-6.4.0 25133 c7fe45cf4b819c5991fe208aaa96edf142730f1d)"
	.section	".note.GNU-stack","",@progbits
	.addrsig
	.addrsig_sym __hip_cuid_5dca77fa515d887a
	.amdgpu_metadata
---
amdhsa.kernels:
  - .args:
      - .actual_access:  read_only
        .address_space:  global
        .offset:         0
        .size:           8
        .value_kind:     global_buffer
      - .actual_access:  read_only
        .address_space:  global
        .offset:         8
        .size:           8
        .value_kind:     global_buffer
      - .actual_access:  read_only
        .address_space:  global
        .offset:         16
        .size:           8
        .value_kind:     global_buffer
      - .actual_access:  read_only
        .address_space:  global
        .offset:         24
        .size:           8
        .value_kind:     global_buffer
      - .actual_access:  read_only
        .address_space:  global
        .offset:         32
        .size:           8
        .value_kind:     global_buffer
      - .offset:         40
        .size:           8
        .value_kind:     by_value
      - .address_space:  global
        .offset:         48
        .size:           8
        .value_kind:     global_buffer
      - .address_space:  global
        .offset:         56
        .size:           8
        .value_kind:     global_buffer
      - .address_space:  global
        .offset:         64
        .size:           8
        .value_kind:     global_buffer
      - .address_space:  global
        .offset:         72
        .size:           8
        .value_kind:     global_buffer
      - .offset:         80
        .size:           4
        .value_kind:     by_value
      - .address_space:  global
        .offset:         88
        .size:           8
        .value_kind:     global_buffer
      - .address_space:  global
        .offset:         96
        .size:           8
        .value_kind:     global_buffer
    .group_segment_fixed_size: 18360
    .kernarg_segment_align: 8
    .kernarg_segment_size: 104
    .language:       OpenCL C
    .language_version:
      - 2
      - 0
    .max_flat_workgroup_size: 255
    .name:           bluestein_single_fwd_len459_dim1_sp_op_CI_CI
    .private_segment_fixed_size: 8
    .sgpr_count:     28
    .sgpr_spill_count: 0
    .symbol:         bluestein_single_fwd_len459_dim1_sp_op_CI_CI.kd
    .uniform_work_group_size: 1
    .uses_dynamic_stack: false
    .vgpr_count:     256
    .vgpr_spill_count: 1
    .wavefront_size: 64
amdhsa.target:   amdgcn-amd-amdhsa--gfx906
amdhsa.version:
  - 1
  - 2
...

	.end_amdgpu_metadata
